;; amdgpu-corpus repo=ROCm/aiter kind=harvested arch=n/a opt=n/a

/root/src/amdgpu-assembly/repos/ROCm__aiter/hsa/gfx942/fmoe_2stages/fmoe_stage1_bf16_pertokenInt8_g1u1_16x512_pf3.co:	file format elf64-amdgpu

Disassembly of section .text:

0000000000002a00 <_ZN5aiter45fmoe_stage1_bf16_pertokenInt8_g1u1_16x512_pf3E>:
	s_and_b32 s1, s1, 0xffff                                   // 000000002A00: 8601FF01 0000FFFF
	s_load_dwordx2 s[8:9], s[0:1], 0x0                         // 000000002A08: C0060200 00000000
	s_load_dwordx2 s[20:21], s[0:1], 0x10                      // 000000002A10: C0060500 00000010
	s_load_dwordx2 s[24:25], s[0:1], 0x20                      // 000000002A18: C0060600 00000020
	s_load_dwordx2 s[48:49], s[0:1], 0x30                      // 000000002A20: C0060C00 00000030
	s_load_dwordx2 s[28:29], s[0:1], 0x40                      // 000000002A28: C0060700 00000040
	s_load_dwordx2 s[32:33], s[0:1], 0x50                      // 000000002A30: C0060800 00000050
	s_load_dwordx2 s[36:37], s[0:1], 0x60                      // 000000002A38: C0060900 00000060
	s_load_dwordx2 s[12:13], s[0:1], 0x70                      // 000000002A40: C0060300 00000070
	s_load_dwordx2 s[44:45], s[0:1], 0x80                      // 000000002A48: C0060B00 00000080
	s_mov_b32 s89, 0                                           // 000000002A50: BED90080
	s_load_dword s64, s[0:1], 0x90                             // 000000002A54: C0021000 00000090
	s_load_dword s65, s[0:1], 0xa0                             // 000000002A5C: C0021040 000000A0
	s_load_dword s66, s[0:1], 0xb0                             // 000000002A64: C0021080 000000B0
	s_load_dword s67, s[0:1], 0xc0                             // 000000002A6C: C00210C0 000000C0
	s_load_dword s68, s[0:1], 0xd0                             // 000000002A74: C0021100 000000D0
	s_load_dword s69, s[0:1], 0xe0                             // 000000002A7C: C0021140 000000E0
	s_load_dword s71, s[0:1], 0xf0                             // 000000002A84: C00211C0 000000F0
	s_load_dword s72, s[0:1], 0x100                            // 000000002A8C: C0021200 00000100
	s_load_dword s74, s[0:1], 0x110                            // 000000002A94: C0021280 00000110
	s_load_dword s76, s[0:1], 0x120                            // 000000002A9C: C0021300 00000120
	s_load_dword s56, s[0:1], 0x130                            // 000000002AA4: C0020E00 00000130
	s_load_dword s88, s[0:1], 0x140                            // 000000002AAC: C0021600 00000140
	s_load_dword s89, s[0:1], 0x150                            // 000000002AB4: C0021640 00000150
	v_lshrrev_b32_e32 v1, 10, v0                               // 000000002ABC: 2002008A
	v_lshrrev_b32_e32 v2, 10, v1                               // 000000002AC0: 2004028A
	v_and_b32_e32 v2, 0x3ff, v2                                // 000000002AC4: 260404FF 000003FF
	v_and_b32_e32 v1, 0x3ff, v1                                // 000000002ACC: 260202FF 000003FF
	v_and_b32_e32 v0, 0x3ff, v0                                // 000000002AD4: 260000FF 000003FF
	v_lshrrev_b32_e32 v3, 6, v0                                // 000000002ADC: 20060086
	v_and_b32_e32 v0, 63, v0                                   // 000000002AE0: 260000BF
	s_mov_b32 s2, s2                                           // 000000002AE4: BE820002
	s_mov_b32 s3, s3                                           // 000000002AE8: BE830003
	s_mov_b32 s4, s4                                           // 000000002AEC: BE840004
	v_readfirstlane_b32 s7, v3                                 // 000000002AF0: 7E0E0503
	s_waitcnt lgkmcnt(0)                                       // 000000002AF4: BF8CC07F
	s_and_b32 s49, s49, 0xffff                                 // 000000002AF8: 8631FF31 0000FFFF
	s_load_dword s48, s[48:49], 0x0                            // 000000002B00: C0020C18 00000000
	s_and_b32 s45, s45, 0xffff                                 // 000000002B08: 862DFF2D 0000FFFF
	s_and_b32 s9, s9, 0xffff                                   // 000000002B10: 8609FF09 0000FFFF
	s_mul_i32 s60, s66, s68                                    // 000000002B18: 923C4442
	s_mul_i32 s61, s66, 4                                      // 000000002B1C: 923D8442
	s_mov_b32 s22, s60                                         // 000000002B20: BE96003C
	s_mov_b32 s26, -16                                         // 000000002B24: BE9A00D0
	s_mov_b32 s30, s61                                         // 000000002B28: BE9E003D
	s_mov_b32 s14, 64                                          // 000000002B2C: BE8E00C0
	s_mov_b32 s38, -16                                         // 000000002B30: BEA600D0
	s_mov_b32 s10, -16                                         // 000000002B34: BE8A00D0
	s_mov_b32 s34, 0x800                                       // 000000002B38: BEA200FF 00000800
	s_mov_b32 s23, 0x20000                                     // 000000002B40: BE9700FF 00020000
	s_mov_b32 s27, 0x20000                                     // 000000002B48: BE9B00FF 00020000
	s_mov_b32 s31, 0x20000                                     // 000000002B50: BE9F00FF 00020000
	s_mov_b32 s35, 0x20000                                     // 000000002B58: BEA300FF 00020000
	s_mov_b32 s15, 0x20000                                     // 000000002B60: BE8F00FF 00020000
	s_mov_b32 s39, 0x20000                                     // 000000002B68: BEA700FF 00020000
	s_mov_b32 s11, 0x20000                                     // 000000002B70: BE8B00FF 00020000
	s_and_b32 s21, s21, 0xffff                                 // 000000002B78: 8615FF15 0000FFFF
	s_and_b32 s25, s25, 0xffff                                 // 000000002B80: 8619FF19 0000FFFF
	s_and_b32 s29, s29, 0xffff                                 // 000000002B88: 861DFF1D 0000FFFF
	s_and_b32 s33, s33, 0xffff                                 // 000000002B90: 8621FF21 0000FFFF
	s_and_b32 s13, s13, 0xffff                                 // 000000002B98: 860DFF0D 0000FFFF
	s_and_b32 s37, s37, 0xffff                                 // 000000002BA0: 8625FF25 0000FFFF
	s_or_b32 s21, s21, 0x40000                                 // 000000002BA8: 8715FF15 00040000
	s_or_b32 s25, s25, 0x40000                                 // 000000002BB0: 8719FF19 00040000
	s_or_b32 s29, s29, 0x40000                                 // 000000002BB8: 871DFF1D 00040000
	s_or_b32 s33, s33, 0x40000                                 // 000000002BC0: 8721FF21 00040000
	s_or_b32 s13, s13, 0x40000                                 // 000000002BC8: 870DFF0D 00040000
	s_or_b32 s37, s37, 0x40000                                 // 000000002BD0: 8725FF25 00040000
	v_accvgpr_write_b32 a207, 0                                // 000000002BD8: D3D940CF 18000080
	v_mov_b32_e32 v111, 0                                      // 000000002BE0: 7EDE0280
	s_waitcnt lgkmcnt(0)                                       // 000000002BE4: BF8CC07F
	s_mul_i32 s60, s3, 16                                      // 000000002BE8: 923C9003
	s_cmp_lt_i32 s60, s48                                      // 000000002BEC: BF04303C
	s_cbranch_scc0 label_1A88                                  // 000000002BF0: BF841A08
	s_mov_b32 s80, 0                                           // 000000002BF4: BED00080
	s_lshr_b32 s81, s64, s88                                   // 000000002BF8: 8F515840
	s_mul_i32 s60, s3, 4                                       // 000000002BFC: 923C8403
	s_add_u32 s44, s60, s44                                    // 000000002C00: 802C2C3C
	s_addc_u32 s45, 0, s45                                     // 000000002C04: 822D2D80
	s_load_dword s5, s[44:45], 0x0                             // 000000002C08: C0020156 00000000
	s_mul_i32 s60, s3, 16                                      // 000000002C10: 923C9003
	s_mul_i32 s60, 4, s60                                      // 000000002C14: 923C3C84
	s_add_u32 s12, s60, s12                                    // 000000002C18: 800C0C3C
	s_addc_u32 s13, 0, s13                                     // 000000002C1C: 820D0D80
	v_and_b32_e32 v4, 15, v0                                   // 000000002C20: 2608008F
	v_lshlrev_b32_e32 v4, 2, v4                                // 000000002C24: 24080882
	buffer_load_dword v31, v4, s[12:15], 0 offen               // 000000002C28: E0501000 80031F04
	v_add_u32_e32 v4, 64, v4                                   // 000000002C30: 680808C0
	s_mul_i32 s60, 4, s7                                       // 000000002C34: 923C0784
	v_lshlrev_b32_e32 v4, 4, v0                                // 000000002C38: 24080084
	v_add_u32_e32 v4, s60, v4                                  // 000000002C3C: 6808083C
	buffer_load_dword v3, v4, s[12:15], 0 offen                // 000000002C40: E0501000 80030304
	v_mov_b32_e32 v48, 0                                       // 000000002C48: 7E600280
	v_mov_b32_e32 v80, 0                                       // 000000002C4C: 7EA00280
	v_mov_b32_e32 v49, 0                                       // 000000002C50: 7E620280
	v_mov_b32_e32 v81, 0                                       // 000000002C54: 7EA20280
	v_mov_b32_e32 v50, 0                                       // 000000002C58: 7E640280
	v_mov_b32_e32 v82, 0                                       // 000000002C5C: 7EA40280
	v_mov_b32_e32 v51, 0                                       // 000000002C60: 7E660280
	v_mov_b32_e32 v83, 0                                       // 000000002C64: 7EA60280
	v_mov_b32_e32 v52, 0                                       // 000000002C68: 7E680280
	v_mov_b32_e32 v84, 0                                       // 000000002C6C: 7EA80280
	v_mov_b32_e32 v53, 0                                       // 000000002C70: 7E6A0280
	v_mov_b32_e32 v85, 0                                       // 000000002C74: 7EAA0280
	v_mov_b32_e32 v54, 0                                       // 000000002C78: 7E6C0280
	v_mov_b32_e32 v86, 0                                       // 000000002C7C: 7EAC0280
	v_mov_b32_e32 v55, 0                                       // 000000002C80: 7E6E0280
	v_mov_b32_e32 v87, 0                                       // 000000002C84: 7EAE0280
	v_mov_b32_e32 v56, 0                                       // 000000002C88: 7E700280
	v_mov_b32_e32 v88, 0                                       // 000000002C8C: 7EB00280
	v_mov_b32_e32 v57, 0                                       // 000000002C90: 7E720280
	v_mov_b32_e32 v89, 0                                       // 000000002C94: 7EB20280
	v_mov_b32_e32 v58, 0                                       // 000000002C98: 7E740280
	v_mov_b32_e32 v90, 0                                       // 000000002C9C: 7EB40280
	v_mov_b32_e32 v59, 0                                       // 000000002CA0: 7E760280
	v_mov_b32_e32 v91, 0                                       // 000000002CA4: 7EB60280
	v_mov_b32_e32 v60, 0                                       // 000000002CA8: 7E780280
	v_mov_b32_e32 v92, 0                                       // 000000002CAC: 7EB80280
	v_mov_b32_e32 v61, 0                                       // 000000002CB0: 7E7A0280
	v_mov_b32_e32 v93, 0                                       // 000000002CB4: 7EBA0280
	v_mov_b32_e32 v62, 0                                       // 000000002CB8: 7E7C0280
	v_mov_b32_e32 v94, 0                                       // 000000002CBC: 7EBC0280
	v_mov_b32_e32 v63, 0                                       // 000000002CC0: 7E7E0280
	v_mov_b32_e32 v95, 0                                       // 000000002CC4: 7EBE0280
	v_mov_b32_e32 v64, 0                                       // 000000002CC8: 7E800280
	v_mov_b32_e32 v96, 0                                       // 000000002CCC: 7EC00280
	v_mov_b32_e32 v65, 0                                       // 000000002CD0: 7E820280
	v_mov_b32_e32 v97, 0                                       // 000000002CD4: 7EC20280
	v_mov_b32_e32 v66, 0                                       // 000000002CD8: 7E840280
	v_mov_b32_e32 v98, 0                                       // 000000002CDC: 7EC40280
	v_mov_b32_e32 v67, 0                                       // 000000002CE0: 7E860280
	v_mov_b32_e32 v99, 0                                       // 000000002CE4: 7EC60280
	v_mov_b32_e32 v68, 0                                       // 000000002CE8: 7E880280
	v_mov_b32_e32 v100, 0                                      // 000000002CEC: 7EC80280
	v_mov_b32_e32 v69, 0                                       // 000000002CF0: 7E8A0280
	v_mov_b32_e32 v101, 0                                      // 000000002CF4: 7ECA0280
	v_mov_b32_e32 v70, 0                                       // 000000002CF8: 7E8C0280
	v_mov_b32_e32 v102, 0                                      // 000000002CFC: 7ECC0280
	v_mov_b32_e32 v71, 0                                       // 000000002D00: 7E8E0280
	v_mov_b32_e32 v103, 0                                      // 000000002D04: 7ECE0280
	v_mov_b32_e32 v72, 0                                       // 000000002D08: 7E900280
	v_mov_b32_e32 v104, 0                                      // 000000002D0C: 7ED00280
	v_mov_b32_e32 v73, 0                                       // 000000002D10: 7E920280
	v_mov_b32_e32 v105, 0                                      // 000000002D14: 7ED20280
	v_mov_b32_e32 v74, 0                                       // 000000002D18: 7E940280
	v_mov_b32_e32 v106, 0                                      // 000000002D1C: 7ED40280
	v_mov_b32_e32 v75, 0                                       // 000000002D20: 7E960280
	v_mov_b32_e32 v107, 0                                      // 000000002D24: 7ED60280
	v_mov_b32_e32 v76, 0                                       // 000000002D28: 7E980280
	v_mov_b32_e32 v108, 0                                      // 000000002D2C: 7ED80280
	v_mov_b32_e32 v77, 0                                       // 000000002D30: 7E9A0280
	v_mov_b32_e32 v109, 0                                      // 000000002D34: 7EDA0280
	v_mov_b32_e32 v78, 0                                       // 000000002D38: 7E9C0280
	v_mov_b32_e32 v110, 0                                      // 000000002D3C: 7EDC0280
	v_mov_b32_e32 v79, 0                                       // 000000002D40: 7E9E0280
	v_mov_b32_e32 v111, 0                                      // 000000002D44: 7EDE0280
	s_mul_i32 s60, s2, 0x400                                   // 000000002D48: 923CFF02 00000400
	s_cmp_eq_u32 s88, 0                                        // 000000002D50: BF068058
	s_cselect_b32 s61, 1, 2                                    // 000000002D54: 853D8281
	s_mul_i32 s60, s60, s61                                    // 000000002D58: 923C3D3C
	s_mov_b32 s90, s8                                          // 000000002D5C: BEDA0008
	s_mov_b32 s91, s9                                          // 000000002D60: BEDB0009
	s_add_u32 s8, s60, s8                                      // 000000002D64: 8008083C
	s_addc_u32 s9, 0, s9                                       // 000000002D68: 82090980
	v_lshrrev_b32_e32 v4, 4, v0                                // 000000002D6C: 20080084
	v_mul_lo_u32 v20, 34, v4                                   // 000000002D70: D2850014 000208A2
	v_and_b32_e32 v4, 15, v0                                   // 000000002D78: 2608008F
	v_mul_lo_u32 v5, 2, v4                                     // 000000002D7C: D2850005 00020882
	v_add_u32_e32 v20, v5, v20                                 // 000000002D84: 68282905
	s_mul_i32 s60, s7, 0x88                                    // 000000002D88: 923CFF07 00000088
	v_add_u32_e32 v20, s60, v20                                // 000000002D90: 6828283C
	v_lshlrev_b32_e32 v20, 2, v20                              // 000000002D94: 24282882
	v_and_b32_e32 v4, 31, v0                                   // 000000002D98: 2608009F
	v_lshrrev_b32_e32 v4, 1, v4                                // 000000002D9C: 20080881
	v_mul_lo_u32 v21, 34, v4                                   // 000000002DA0: D2850015 000208A2
	v_lshrrev_b32_e32 v4, 5, v0                                // 000000002DA8: 20080085
	v_mul_lo_u32 v4, 8, v4                                     // 000000002DAC: D2850004 00020888
	v_add_u32_e32 v21, v21, v4                                 // 000000002DB4: 682A0915
	v_and_b32_e32 v5, 1, v0                                    // 000000002DB8: 260A0081
	v_add_u32_e32 v21, v5, v21                                 // 000000002DBC: 682A2B05
	s_mul_i32 s60, s7, 2                                       // 000000002DC0: 923C8207
	v_add_u32_e32 v21, s60, v21                                // 000000002DC4: 682A2A3C
	v_lshlrev_b32_e32 v21, 2, v21                              // 000000002DC8: 242A2A82
	s_mul_i32 s60, s7, 0x220                                   // 000000002DCC: 923CFF07 00000220
	s_add_u32 s48, 0, s60                                      // 000000002DD4: 80303C80
	s_add_u32 s49, 0x880, s48                                  // 000000002DD8: 803130FF 00000880
	s_add_u32 s50, 0x880, s49                                  // 000000002DE0: 803231FF 00000880
	v_lshrrev_b32_e32 v4, 4, v0                                // 000000002DE8: 20080084
	v_lshlrev_b32_e32 v5, 2, v4                                // 000000002DEC: 240A0882
	v_and_b32_e32 v4, 15, v0                                   // 000000002DF0: 2608008F
	v_lshrrev_b32_e32 v6, 2, v4                                // 000000002DF4: 200C0882
	v_lshlrev_b32_e32 v6, 5, v6                                // 000000002DF8: 240C0C85
	v_add_u32_e32 v5, v6, v5                                   // 000000002DFC: 680A0B06
	v_and_b32_e32 v4, 3, v0                                    // 000000002E00: 26080083
	v_mul_u32_u24_e32 v6, 0x88, v4                             // 000000002E04: 100C08FF 00000088
	v_add_u32_e32 v5, v6, v5                                   // 000000002E0C: 680A0B06
	v_lshlrev_b32_e32 v2, 2, v5                                // 000000002E10: 24040A82
	s_waitcnt lgkmcnt(0)                                       // 000000002E14: BF8CC07F
	s_mul_i32 s60, s2, 0x200                                   // 000000002E18: 923CFF02 00000200
	s_mul_i32 s60, s60, s69                                    // 000000002E20: 923C453C
	s_mul_i32 s61, s5, s72                                     // 000000002E24: 923D4805
	s_add_u32 s60, s61, s60                                    // 000000002E28: 803C3C3D
	s_add_u32 s24, s60, s24                                    // 000000002E2C: 8018183C
	s_addc_u32 s25, 0, s25                                     // 000000002E30: 82191980
	s_lshr_b32 s60, s64, s88                                   // 000000002E34: 8F3C5840
	s_mul_i32 s60, s4, s60                                     // 000000002E38: 923C3C04
	s_lshr_b32 s60, s60, 7                                     // 000000002E3C: 8F3C873C
	s_mul_i32 s60, s60, 0x800                                  // 000000002E40: 923CFF3C 00000800
	s_add_u32 s24, s60, s24                                    // 000000002E48: 8018183C
	s_addc_u32 s25, 0, s25                                     // 000000002E4C: 82191980
	s_lshr_b32 s60, s69, s88                                   // 000000002E50: 8F3C5845
	s_mul_i32 s60, s4, s60                                     // 000000002E54: 923C3C04
	s_add_u32 s20, s60, s20                                    // 000000002E58: 8014143C
	s_addc_u32 s21, 0, s21                                     // 000000002E5C: 82151580
	s_mul_i32 s60, s7, 16                                      // 000000002E60: 923C9007
	s_mul_i32 s60, s60, s69                                    // 000000002E64: 923C453C
	v_lshlrev_b32_e32 v37, 4, v0                               // 000000002E68: 244A0084
	v_add_u32_e32 v37, s60, v37                                // 000000002E6C: 684A4A3C
	s_mul_i32 s60, 64, s69                                     // 000000002E70: 923C45C0
	v_add_u32_e32 v38, s60, v37                                // 000000002E74: 684C4A3C
	v_add_u32_e32 v39, s60, v38                                // 000000002E78: 684E4C3C
	v_add_u32_e32 v40, s60, v39                                // 000000002E7C: 68504E3C
	v_add_u32_e32 v41, s60, v40                                // 000000002E80: 6852503C
	v_add_u32_e32 v42, s60, v41                                // 000000002E84: 6854523C
	v_add_u32_e32 v43, s60, v42                                // 000000002E88: 6856543C
	v_add_u32_e32 v44, s60, v43                                // 000000002E8C: 6858563C
	s_mov_b32 s84, s24                                         // 000000002E90: BED40018
	s_mov_b32 s85, s25                                         // 000000002E94: BED50019
	s_mov_b32 s86, s26                                         // 000000002E98: BED6001A
	s_mov_b32 s87, s27                                         // 000000002E9C: BED7001B
	s_mul_i32 s60, s69, s65                                    // 000000002EA0: 923C4145
	s_add_u32 s84, s60, s84                                    // 000000002EA4: 8054543C
	s_addc_u32 s85, 0, s85                                     // 000000002EA8: 82555580
	v_lshrrev_b32_e32 v4, 4, v0                                // 000000002EAC: 20080084
	v_lshlrev_b32_e32 v5, 2, v4                                // 000000002EB0: 240A0882
	v_and_b32_e32 v4, 15, v0                                   // 000000002EB4: 2608008F
	v_lshrrev_b32_e32 v6, 2, v4                                // 000000002EB8: 200C0882
	v_lshlrev_b32_e32 v6, 6, v6                                // 000000002EBC: 240C0C86
	v_add_u32_e32 v5, v6, v5                                   // 000000002EC0: 680A0B06
	v_and_b32_e32 v4, 3, v0                                    // 000000002EC4: 26080083
	v_add_u32_e32 v5, v4, v5                                   // 000000002EC8: 680A0B04
	v_lshlrev_b32_e32 v22, 2, v5                               // 000000002ECC: 242C0A82
	v_add_u32_e32 v23, 0x400, v22                              // 000000002ED0: 682E2CFF 00000400
	s_mul_i32 s60, s7, 16                                      // 000000002ED8: 923C9007
	s_mul_i32 s60, s60, 4                                      // 000000002EDC: 923C843C
	v_add_u32_e32 v22, s60, v22                                // 000000002EE0: 682C2C3C
	v_add_u32_e32 v23, s60, v23                                // 000000002EE4: 682E2E3C
	s_mul_i32 s60, s2, 0x200                                   // 000000002EE8: 923CFF02 00000200
	s_mul_i32 s60, s60, 4                                      // 000000002EF0: 923C843C
	s_mul_i32 s61, s5, s74                                     // 000000002EF4: 923D4A05
	s_add_u32 s61, s61, s60                                    // 000000002EF8: 803D3C3D
	s_add_u32 s32, s61, s32                                    // 000000002EFC: 8020203D
	s_addc_u32 s33, 0, s33                                     // 000000002F00: 82212180
	s_mov_b32 s57, 0x80                                        // 000000002F04: BEB900FF 00000080
	s_mov_b32 s58, 0x800                                       // 000000002F0C: BEBA00FF 00000800
	s_mov_b32 s83, s58                                         // 000000002F14: BED3003A
	s_mov_b32 s52, 0x7060302                                   // 000000002F18: BEB400FF 07060302
	s_mov_b32 s53, 0x400                                       // 000000002F20: BEB500FF 00000400
	s_mov_b32 s54, 0x40100                                     // 000000002F28: BEB600FF 00040100
	s_mov_b32 s55, 0x4020100                                   // 000000002F30: BEB700FF 04020100
	s_mov_b32 s6, 0x3fb8aa3b                                   // 000000002F38: BE8600FF 3FB8AA3B
	s_mov_b32 s78, 0xbd92220c                                  // 000000002F40: BECE00FF BD92220C
	s_mov_b32 s79, 0xbd92220c                                  // 000000002F48: BECF00FF BD92220C
	s_mov_b32 m0, s48                                          // 000000002F50: BEFC0030
	v_mov_b32_e32 v1, 0xbfcc4231                               // 000000002F54: 7E0202FF BFCC4231
	v_mov_b32_e32 v17, 0xffff0000                              // 000000002F5C: 7E2202FF FFFF0000
	v_mov_b32_e32 v18, 0x7fff0000                              // 000000002F64: 7E2402FF 7FFF0000
	v_mov_b32_e32 v19, 0x7fff                                  // 000000002F6C: 7E2602FF 00007FFF
	s_waitcnt vmcnt(0) expcnt(0) lgkmcnt(0)                    // 000000002F74: BF8C0000
	v_lshrrev_b32_e32 v4, 5, v0                                // 000000002F78: 20080085
	v_xor_b32_e32 v5, 1, v4                                    // 000000002F7C: 2A0A0881
	v_readlane_b32 s82, v3, 0                                  // 000000002F80: D2890052 00010103
	s_and_b32 s82, s82, 0xffffff                               // 000000002F88: 8652FF52 00FFFFFF
	v_mul_lo_u32 v6, v5, s82                                   // 000000002F90: D2850006 0000A505
	v_readlane_b32 s82, v3, 1                                  // 000000002F98: D2890052 00010303
	s_and_b32 s82, s82, 0xffffff                               // 000000002FA0: 8652FF52 00FFFFFF
	v_mul_lo_u32 v7, v4, s82                                   // 000000002FA8: D2850007 0000A504
	v_add_u32_e32 v35, v6, v7                                  // 000000002FB0: 68460F06
	v_mul_lo_u32 v35, v35, s68                                 // 000000002FB4: D2850023 00008923
	v_readlane_b32 s82, v3, 2                                  // 000000002FBC: D2890052 00010503
	s_and_b32 s82, s82, 0xffffff                               // 000000002FC4: 8652FF52 00FFFFFF
	v_mul_lo_u32 v6, v5, s82                                   // 000000002FCC: D2850006 0000A505
	v_readlane_b32 s82, v3, 3                                  // 000000002FD4: D2890052 00010703
	s_and_b32 s82, s82, 0xffffff                               // 000000002FDC: 8652FF52 00FFFFFF
	v_mul_lo_u32 v7, v4, s82                                   // 000000002FE4: D2850007 0000A504
	v_add_u32_e32 v36, v6, v7                                  // 000000002FEC: 68480F06
	v_mul_lo_u32 v36, v36, s68                                 // 000000002FF0: D2850024 00008924
	v_and_b32_e32 v4, 31, v0                                   // 000000002FF8: 2608009F
	v_lshlrev_b32_e32 v4, 2, v4                                // 000000002FFC: 24080882
	v_add_u32_e32 v35, v35, v4                                 // 000000003000: 68460923
	v_add_u32_e32 v36, v36, v4                                 // 000000003004: 68480924
	v_and_b32_e32 v31, 0xffffff, v31                           // 000000003008: 263E3EFF 00FFFFFF
	v_lshlrev_b32_e32 v31, 2, v31                              // 000000003010: 243E3E82
	s_lshl_b32 s3, s66, 2                                      // 000000003014: 8E038242
	buffer_load_dword v32, v31, s[28:31], 0 offen              // 000000003018: E0501000 8007201F
	buffer_load_dword v25, v22, s[32:35], 0 offen              // 000000003020: E0501000 80081916
	buffer_load_dword v26, v23, s[32:35], 0 offen              // 000000003028: E0501000 80081A17
	s_mul_i32 s60, 4, s65                                      // 000000003030: 923C4184
	s_add_u32 s32, s60, s32                                    // 000000003034: 8020203C
	s_addc_u32 s33, 0, s33                                     // 000000003038: 82212180
	buffer_load_dword v28, v22, s[32:35], 0 offen              // 00000000303C: E0501000 80081C16
	buffer_load_dword v29, v23, s[32:35], 0 offen              // 000000003044: E0501000 80081D17
	buffer_load_dword v35, s[20:23], 0 offen lds               // 00000000304C: E0511000 80050023
	s_add_u32 m0, 0x100, s48                                   // 000000003054: 807C30FF 00000100
	buffer_load_dword v36, s[20:23], 0 offen lds               // 00000000305C: E0511000 80050024
	s_add_u32 m0, 0, s49                                       // 000000003064: 807C3180
	s_add_u32 s20, s57, s20                                    // 000000003068: 80141439
	s_addc_u32 s21, 0, s21                                     // 00000000306C: 82151580
	buffer_load_dwordx4 a[16:19], v37, s[24:27], 0 offen       // 000000003070: E05C1000 80861025
	buffer_load_dwordx4 a[20:23], v37, s[24:27], 0 offen offset:1024// 000000003078: E05C1400 80861425
	buffer_load_dwordx4 a[24:27], v38, s[24:27], 0 offen       // 000000003080: E05C1000 80861826
	buffer_load_dwordx4 a[28:31], v38, s[24:27], 0 offen offset:1024// 000000003088: E05C1400 80861C26
	buffer_load_dwordx4 a[32:35], v39, s[24:27], 0 offen       // 000000003090: E05C1000 80862027
	buffer_load_dwordx4 a[36:39], v39, s[24:27], 0 offen offset:1024// 000000003098: E05C1400 80862427
	buffer_load_dwordx4 a[40:43], v40, s[24:27], 0 offen       // 0000000030A0: E05C1000 80862828
	buffer_load_dwordx4 a[44:47], v40, s[24:27], 0 offen offset:1024// 0000000030A8: E05C1400 80862C28
	buffer_load_dwordx4 a[48:51], v41, s[24:27], 0 offen       // 0000000030B0: E05C1000 80863029
	buffer_load_dwordx4 a[52:55], v41, s[24:27], 0 offen offset:1024// 0000000030B8: E05C1400 80863429
	buffer_load_dwordx4 a[56:59], v42, s[24:27], 0 offen       // 0000000030C0: E05C1000 8086382A
	buffer_load_dwordx4 a[60:63], v42, s[24:27], 0 offen offset:1024// 0000000030C8: E05C1400 80863C2A
	buffer_load_dwordx4 a[64:67], v43, s[24:27], 0 offen       // 0000000030D0: E05C1000 8086402B
	buffer_load_dwordx4 a[68:71], v43, s[24:27], 0 offen offset:1024// 0000000030D8: E05C1400 8086442B
	buffer_load_dwordx4 a[72:75], v44, s[24:27], 0 offen       // 0000000030E0: E05C1000 8086482C
	buffer_load_dwordx4 a[76:79], v44, s[24:27], 0 offen offset:1024// 0000000030E8: E05C1400 80864C2C
	s_add_u32 s24, s58, s24                                    // 0000000030F0: 8018183A
	s_addc_u32 s25, 0, s25                                     // 0000000030F4: 82191980
	buffer_load_dword v35, s[20:23], 0 offen lds               // 0000000030F8: E0511000 80050023
	s_add_u32 m0, 0x100, s49                                   // 000000003100: 807C31FF 00000100
	buffer_load_dword v36, s[20:23], 0 offen lds               // 000000003108: E0511000 80050024
	s_add_u32 m0, 0, s50                                       // 000000003110: 807C3280
	s_add_u32 s20, s57, s20                                    // 000000003114: 80141439
	s_addc_u32 s21, 0, s21                                     // 000000003118: 82151580
	buffer_load_dwordx4 a[80:83], v37, s[84:87], 0 offen       // 00000000311C: E05C1000 80955025
	buffer_load_dwordx4 a[84:87], v37, s[84:87], 0 offen offset:1024// 000000003124: E05C1400 80955425
	buffer_load_dwordx4 a[88:91], v38, s[84:87], 0 offen       // 00000000312C: E05C1000 80955826
	buffer_load_dwordx4 a[92:95], v38, s[84:87], 0 offen offset:1024// 000000003134: E05C1400 80955C26
	buffer_load_dwordx4 a[96:99], v39, s[84:87], 0 offen       // 00000000313C: E05C1000 80956027
	buffer_load_dwordx4 a[100:103], v39, s[84:87], 0 offen offset:1024// 000000003144: E05C1400 80956427
	buffer_load_dwordx4 a[104:107], v40, s[84:87], 0 offen     // 00000000314C: E05C1000 80956828
	buffer_load_dwordx4 a[108:111], v40, s[84:87], 0 offen offset:1024// 000000003154: E05C1400 80956C28
	buffer_load_dwordx4 a[112:115], v41, s[84:87], 0 offen     // 00000000315C: E05C1000 80957029
	buffer_load_dwordx4 a[116:119], v41, s[84:87], 0 offen offset:1024// 000000003164: E05C1400 80957429
	buffer_load_dwordx4 a[120:123], v42, s[84:87], 0 offen     // 00000000316C: E05C1000 8095782A
	buffer_load_dwordx4 a[124:127], v42, s[84:87], 0 offen offset:1024// 000000003174: E05C1400 80957C2A
	buffer_load_dwordx4 a[128:131], v43, s[84:87], 0 offen     // 00000000317C: E05C1000 8095802B
	buffer_load_dwordx4 a[132:135], v43, s[84:87], 0 offen offset:1024// 000000003184: E05C1400 8095842B
	buffer_load_dwordx4 a[136:139], v44, s[84:87], 0 offen     // 00000000318C: E05C1000 8095882C
	buffer_load_dwordx4 a[140:143], v44, s[84:87], 0 offen offset:1024// 000000003194: E05C1400 80958C2C
	s_add_u32 s84, s83, s84                                    // 00000000319C: 80545453
	s_addc_u32 s85, 0, s85                                     // 0000000031A0: 82555580
	s_waitcnt vmcnt(34)                                        // 0000000031A4: BF8C8F72
	s_barrier                                                  // 0000000031A8: BF8A0000
	ds_read_b128 a[0:3], v2                                    // 0000000031AC: DBFE0000 00000002
	ds_read_b128 a[4:7], v2 offset:64                          // 0000000031B4: DBFE0040 04000002
	s_cmp_lt_i32 s7, 2                                         // 0000000031BC: BF048207
	s_cbranch_scc0 label_0E3E                                  // 0000000031C0: BF840C4A

00000000000031c4 <label_01F1>:
	s_waitcnt vmcnt(18) lgkmcnt(0)                             // 0000000031C4: BF8C4072
	v_mfma_i32_16x16x32_i8 v[48:51], a[16:17], a[0:1], v[48:51]// 0000000031C8: D3D70030 1CC20110
	v_mfma_i32_16x16x32_i8 v[48:51], a[18:19], a[2:3], v[48:51]// 0000000031D0: D3D70030 1CC20512
	buffer_load_dwordx4 a[144:147], v37, s[24:27], 0 offen     // 0000000031D8: E05C1000 80869025
	v_mfma_i32_16x16x32_i8 v[48:51], a[20:21], a[4:5], v[48:51]// 0000000031E0: D3D70030 1CC20914
	v_mfma_i32_16x16x32_i8 v[48:51], a[22:23], a[6:7], v[48:51]// 0000000031E8: D3D70030 1CC20D16
	v_mfma_i32_16x16x32_i8 v[52:55], a[24:25], a[0:1], v[52:55]// 0000000031F0: D3D70034 1CD20118
	v_mfma_i32_16x16x32_i8 v[52:55], a[26:27], a[2:3], v[52:55]// 0000000031F8: D3D70034 1CD2051A
	buffer_load_dwordx4 a[148:151], v37, s[24:27], 0 offen offset:1024// 000000003200: E05C1400 80869425
	v_mfma_i32_16x16x32_i8 v[52:55], a[28:29], a[4:5], v[52:55]// 000000003208: D3D70034 1CD2091C
	v_mfma_i32_16x16x32_i8 v[52:55], a[30:31], a[6:7], v[52:55]// 000000003210: D3D70034 1CD20D1E
	v_mfma_i32_16x16x32_i8 v[56:59], a[32:33], a[0:1], v[56:59]// 000000003218: D3D70038 1CE20120
	v_mfma_i32_16x16x32_i8 v[56:59], a[34:35], a[2:3], v[56:59]// 000000003220: D3D70038 1CE20522
	buffer_load_dwordx4 a[152:155], v38, s[24:27], 0 offen     // 000000003228: E05C1000 80869826
	v_mfma_i32_16x16x32_i8 v[56:59], a[36:37], a[4:5], v[56:59]// 000000003230: D3D70038 1CE20924
	v_mfma_i32_16x16x32_i8 v[56:59], a[38:39], a[6:7], v[56:59]// 000000003238: D3D70038 1CE20D26
	v_mfma_i32_16x16x32_i8 v[60:63], a[40:41], a[0:1], v[60:63]// 000000003240: D3D7003C 1CF20128
	v_mfma_i32_16x16x32_i8 v[60:63], a[42:43], a[2:3], v[60:63]// 000000003248: D3D7003C 1CF2052A
	buffer_load_dwordx4 a[156:159], v38, s[24:27], 0 offen offset:1024// 000000003250: E05C1400 80869C26
	v_mfma_i32_16x16x32_i8 v[60:63], a[44:45], a[4:5], v[60:63]// 000000003258: D3D7003C 1CF2092C
	v_mfma_i32_16x16x32_i8 v[60:63], a[46:47], a[6:7], v[60:63]// 000000003260: D3D7003C 1CF20D2E
	v_mfma_i32_16x16x32_i8 v[64:67], a[48:49], a[0:1], v[64:67]// 000000003268: D3D70040 1D020130
	v_mfma_i32_16x16x32_i8 v[64:67], a[50:51], a[2:3], v[64:67]// 000000003270: D3D70040 1D020532
	buffer_load_dwordx4 a[160:163], v39, s[24:27], 0 offen     // 000000003278: E05C1000 8086A027
	v_mfma_i32_16x16x32_i8 v[64:67], a[52:53], a[4:5], v[64:67]// 000000003280: D3D70040 1D020934
	v_mfma_i32_16x16x32_i8 v[64:67], a[54:55], a[6:7], v[64:67]// 000000003288: D3D70040 1D020D36
	v_mfma_i32_16x16x32_i8 v[68:71], a[56:57], a[0:1], v[68:71]// 000000003290: D3D70044 1D120138
	v_mfma_i32_16x16x32_i8 v[68:71], a[58:59], a[2:3], v[68:71]// 000000003298: D3D70044 1D12053A
	buffer_load_dwordx4 a[164:167], v39, s[24:27], 0 offen offset:1024// 0000000032A0: E05C1400 8086A427
	v_mfma_i32_16x16x32_i8 v[68:71], a[60:61], a[4:5], v[68:71]// 0000000032A8: D3D70044 1D12093C
	v_mfma_i32_16x16x32_i8 v[68:71], a[62:63], a[6:7], v[68:71]// 0000000032B0: D3D70044 1D120D3E
	v_mfma_i32_16x16x32_i8 v[72:75], a[64:65], a[0:1], v[72:75]// 0000000032B8: D3D70048 1D220140
	v_mfma_i32_16x16x32_i8 v[72:75], a[66:67], a[2:3], v[72:75]// 0000000032C0: D3D70048 1D220542
	buffer_load_dwordx4 a[168:171], v40, s[24:27], 0 offen     // 0000000032C8: E05C1000 8086A828
	v_mfma_i32_16x16x32_i8 v[72:75], a[68:69], a[4:5], v[72:75]// 0000000032D0: D3D70048 1D220944
	v_mfma_i32_16x16x32_i8 v[72:75], a[70:71], a[6:7], v[72:75]// 0000000032D8: D3D70048 1D220D46
	v_mfma_i32_16x16x32_i8 v[76:79], a[72:73], a[0:1], v[76:79]// 0000000032E0: D3D7004C 1D320148
	v_mfma_i32_16x16x32_i8 v[76:79], a[74:75], a[2:3], v[76:79]// 0000000032E8: D3D7004C 1D32054A
	buffer_load_dwordx4 a[172:175], v40, s[24:27], 0 offen offset:1024// 0000000032F0: E05C1400 8086AC28
	v_mfma_i32_16x16x32_i8 v[76:79], a[76:77], a[4:5], v[76:79]// 0000000032F8: D3D7004C 1D32094C
	v_mfma_i32_16x16x32_i8 v[76:79], a[78:79], a[6:7], v[76:79]// 000000003300: D3D7004C 1D320D4E
	buffer_load_dwordx4 a[176:179], v41, s[24:27], 0 offen     // 000000003308: E05C1000 8086B029
	buffer_load_dwordx4 a[180:183], v41, s[24:27], 0 offen offset:1024// 000000003310: E05C1400 8086B429
	buffer_load_dwordx4 a[184:187], v42, s[24:27], 0 offen     // 000000003318: E05C1000 8086B82A
	buffer_load_dwordx4 a[188:191], v42, s[24:27], 0 offen offset:1024// 000000003320: E05C1400 8086BC2A
	buffer_load_dwordx4 a[192:195], v43, s[24:27], 0 offen     // 000000003328: E05C1000 8086C02B
	buffer_load_dwordx4 a[196:199], v43, s[24:27], 0 offen offset:1024// 000000003330: E05C1400 8086C42B
	buffer_load_dwordx4 a[200:203], v44, s[24:27], 0 offen     // 000000003338: E05C1000 8086C82C
	buffer_load_dwordx4 a[204:207], v44, s[24:27], 0 offen offset:1024// 000000003340: E05C1400 8086CC2C
	buffer_load_dword v35, s[20:23], 0 offen lds               // 000000003348: E0511000 80050023
	s_add_u32 m0, 0x100, s50                                   // 000000003350: 807C32FF 00000100
	buffer_load_dword v36, s[20:23], 0 offen lds               // 000000003358: E0511000 80050024
	s_add_u32 m0, 0, s48                                       // 000000003360: 807C3080
	s_waitcnt vmcnt(18)                                        // 000000003364: BF8C4F72
	s_barrier                                                  // 000000003368: BF8A0000
	v_mfma_i32_16x16x32_i8 v[80:83], a[80:81], a[0:1], v[80:83]// 00000000336C: D3D70050 1D420150
	v_mfma_i32_16x16x32_i8 v[80:83], a[82:83], a[2:3], v[80:83]// 000000003374: D3D70050 1D420552
	buffer_load_dwordx4 a[16:19], v37, s[84:87], 0 offen       // 00000000337C: E05C1000 80951025
	v_mfma_i32_16x16x32_i8 v[80:83], a[84:85], a[4:5], v[80:83]// 000000003384: D3D70050 1D420954
	v_mfma_i32_16x16x32_i8 v[80:83], a[86:87], a[6:7], v[80:83]// 00000000338C: D3D70050 1D420D56
	ds_read_b128 a[8:11], v2 offset:2176                       // 000000003394: DBFE0880 08000002
	ds_read_b128 a[12:15], v2 offset:2240                      // 00000000339C: DBFE08C0 0C000002
	v_mfma_i32_16x16x32_i8 v[84:87], a[88:89], a[0:1], v[84:87]// 0000000033A4: D3D70054 1D520158
	v_mfma_i32_16x16x32_i8 v[84:87], a[90:91], a[2:3], v[84:87]// 0000000033AC: D3D70054 1D52055A
	buffer_load_dwordx4 a[20:23], v37, s[84:87], 0 offen offset:1024// 0000000033B4: E05C1400 80951425
	v_mfma_i32_16x16x32_i8 v[84:87], a[92:93], a[4:5], v[84:87]// 0000000033BC: D3D70054 1D52095C
	v_mfma_i32_16x16x32_i8 v[84:87], a[94:95], a[6:7], v[84:87]// 0000000033C4: D3D70054 1D520D5E
	v_mfma_i32_16x16x32_i8 v[88:91], a[96:97], a[0:1], v[88:91]// 0000000033CC: D3D70058 1D620160
	v_mfma_i32_16x16x32_i8 v[88:91], a[98:99], a[2:3], v[88:91]// 0000000033D4: D3D70058 1D620562
	buffer_load_dwordx4 a[24:27], v38, s[84:87], 0 offen       // 0000000033DC: E05C1000 80951826
	v_mfma_i32_16x16x32_i8 v[88:91], a[100:101], a[4:5], v[88:91]// 0000000033E4: D3D70058 1D620964
	v_mfma_i32_16x16x32_i8 v[88:91], a[102:103], a[6:7], v[88:91]// 0000000033EC: D3D70058 1D620D66
	v_mfma_i32_16x16x32_i8 v[92:95], a[104:105], a[0:1], v[92:95]// 0000000033F4: D3D7005C 1D720168
	v_mfma_i32_16x16x32_i8 v[92:95], a[106:107], a[2:3], v[92:95]// 0000000033FC: D3D7005C 1D72056A
	buffer_load_dwordx4 a[28:31], v38, s[84:87], 0 offen offset:1024// 000000003404: E05C1400 80951C26
	v_mfma_i32_16x16x32_i8 v[92:95], a[108:109], a[4:5], v[92:95]// 00000000340C: D3D7005C 1D72096C
	v_mfma_i32_16x16x32_i8 v[92:95], a[110:111], a[6:7], v[92:95]// 000000003414: D3D7005C 1D720D6E
	v_mfma_i32_16x16x32_i8 v[96:99], a[112:113], a[0:1], v[96:99]// 00000000341C: D3D70060 1D820170
	v_mfma_i32_16x16x32_i8 v[96:99], a[114:115], a[2:3], v[96:99]// 000000003424: D3D70060 1D820572
	buffer_load_dwordx4 a[32:35], v39, s[84:87], 0 offen       // 00000000342C: E05C1000 80952027
	v_mfma_i32_16x16x32_i8 v[96:99], a[116:117], a[4:5], v[96:99]// 000000003434: D3D70060 1D820974
	v_mfma_i32_16x16x32_i8 v[96:99], a[118:119], a[6:7], v[96:99]// 00000000343C: D3D70060 1D820D76
	v_mfma_i32_16x16x32_i8 v[100:103], a[120:121], a[0:1], v[100:103]// 000000003444: D3D70064 1D920178
	v_mfma_i32_16x16x32_i8 v[100:103], a[122:123], a[2:3], v[100:103]// 00000000344C: D3D70064 1D92057A
	buffer_load_dwordx4 a[36:39], v39, s[84:87], 0 offen offset:1024// 000000003454: E05C1400 80952427
	v_mfma_i32_16x16x32_i8 v[100:103], a[124:125], a[4:5], v[100:103]// 00000000345C: D3D70064 1D92097C
	v_mfma_i32_16x16x32_i8 v[100:103], a[126:127], a[6:7], v[100:103]// 000000003464: D3D70064 1D920D7E
	v_mfma_i32_16x16x32_i8 v[104:107], a[128:129], a[0:1], v[104:107]// 00000000346C: D3D70068 1DA20180
	s_add_u32 s60, 0x180, s80                                  // 000000003474: 803C50FF 00000180
	s_cmp_lt_u32 s60, s81                                      // 00000000347C: BF0A513C
	s_cselect_b32 s57, s57, 0                                  // 000000003480: 85398039
	v_mfma_i32_16x16x32_i8 v[104:107], a[130:131], a[2:3], v[104:107]// 000000003484: D3D70068 1DA20582
	buffer_load_dwordx4 a[40:43], v40, s[84:87], 0 offen       // 00000000348C: E05C1000 80952828
	s_add_u32 s60, 0x100, s80                                  // 000000003494: 803C50FF 00000100
	s_cmp_lt_u32 s60, s81                                      // 00000000349C: BF0A513C
	s_cselect_b32 s58, s58, 0                                  // 0000000034A0: 853A803A
	v_mfma_i32_16x16x32_i8 v[104:107], a[132:133], a[4:5], v[104:107]// 0000000034A4: D3D70068 1DA20984
	s_add_u32 s60, 0x100, s80                                  // 0000000034AC: 803C50FF 00000100
	s_cmp_lt_u32 s60, s81                                      // 0000000034B4: BF0A513C
	s_cselect_b32 s83, s83, 0                                  // 0000000034B8: 85538053
	v_mfma_i32_16x16x32_i8 v[104:107], a[134:135], a[6:7], v[104:107]// 0000000034BC: D3D70068 1DA20D86
	s_add_u32 s24, s58, s24                                    // 0000000034C4: 8018183A
	s_addc_u32 s25, 0, s25                                     // 0000000034C8: 82191980
	v_mfma_i32_16x16x32_i8 v[108:111], a[136:137], a[0:1], v[108:111]// 0000000034CC: D3D7006C 1DB20188
	s_add_u32 s20, s57, s20                                    // 0000000034D4: 80141439
	s_addc_u32 s21, 0, s21                                     // 0000000034D8: 82151580
	v_mfma_i32_16x16x32_i8 v[108:111], a[138:139], a[2:3], v[108:111]// 0000000034DC: D3D7006C 1DB2058A
	buffer_load_dwordx4 a[44:47], v40, s[84:87], 0 offen offset:1024// 0000000034E4: E05C1400 80952C28
	v_mfma_i32_16x16x32_i8 v[108:111], a[140:141], a[4:5], v[108:111]// 0000000034EC: D3D7006C 1DB2098C
	v_mfma_i32_16x16x32_i8 v[108:111], a[142:143], a[6:7], v[108:111]// 0000000034F4: D3D7006C 1DB20D8E
	buffer_load_dwordx4 a[48:51], v41, s[84:87], 0 offen       // 0000000034FC: E05C1000 80953029
	buffer_load_dwordx4 a[52:55], v41, s[84:87], 0 offen offset:1024// 000000003504: E05C1400 80953429
	buffer_load_dwordx4 a[56:59], v42, s[84:87], 0 offen       // 00000000350C: E05C1000 8095382A
	buffer_load_dwordx4 a[60:63], v42, s[84:87], 0 offen offset:1024// 000000003514: E05C1400 80953C2A
	buffer_load_dwordx4 a[64:67], v43, s[84:87], 0 offen       // 00000000351C: E05C1000 8095402B
	buffer_load_dwordx4 a[68:71], v43, s[84:87], 0 offen offset:1024// 000000003524: E05C1400 8095442B
	buffer_load_dwordx4 a[72:75], v44, s[84:87], 0 offen       // 00000000352C: E05C1000 8095482C
	buffer_load_dwordx4 a[76:79], v44, s[84:87], 0 offen offset:1024// 000000003534: E05C1400 80954C2C
	s_add_u32 s84, s83, s84                                    // 00000000353C: 80545453
	s_addc_u32 s85, 0, s85                                     // 000000003540: 82555580
	s_addk_i32 s80, 0x80                                       // 000000003544: B7500080
	s_cmp_lt_i32 s80, s81                                      // 000000003548: BF045150
	s_cbranch_scc0 label_0744                                  // 00000000354C: BF840470
	s_waitcnt vmcnt(18) lgkmcnt(0)                             // 000000003550: BF8C4072
	v_mfma_i32_16x16x32_i8 v[48:51], a[144:145], a[8:9], v[48:51]// 000000003554: D3D70030 1CC21190
	v_mfma_i32_16x16x32_i8 v[48:51], a[146:147], a[10:11], v[48:51]// 00000000355C: D3D70030 1CC21592
	buffer_load_dwordx4 a[80:83], v37, s[24:27], 0 offen       // 000000003564: E05C1000 80865025
	v_mfma_i32_16x16x32_i8 v[48:51], a[148:149], a[12:13], v[48:51]// 00000000356C: D3D70030 1CC21994
	v_mfma_i32_16x16x32_i8 v[48:51], a[150:151], a[14:15], v[48:51]// 000000003574: D3D70030 1CC21D96
	v_mfma_i32_16x16x32_i8 v[52:55], a[152:153], a[8:9], v[52:55]// 00000000357C: D3D70034 1CD21198
	v_mfma_i32_16x16x32_i8 v[52:55], a[154:155], a[10:11], v[52:55]// 000000003584: D3D70034 1CD2159A
	buffer_load_dwordx4 a[84:87], v37, s[24:27], 0 offen offset:1024// 00000000358C: E05C1400 80865425
	v_mfma_i32_16x16x32_i8 v[52:55], a[156:157], a[12:13], v[52:55]// 000000003594: D3D70034 1CD2199C
	v_mfma_i32_16x16x32_i8 v[52:55], a[158:159], a[14:15], v[52:55]// 00000000359C: D3D70034 1CD21D9E
	v_mfma_i32_16x16x32_i8 v[56:59], a[160:161], a[8:9], v[56:59]// 0000000035A4: D3D70038 1CE211A0
	v_mfma_i32_16x16x32_i8 v[56:59], a[162:163], a[10:11], v[56:59]// 0000000035AC: D3D70038 1CE215A2
	buffer_load_dwordx4 a[88:91], v38, s[24:27], 0 offen       // 0000000035B4: E05C1000 80865826
	v_mfma_i32_16x16x32_i8 v[56:59], a[164:165], a[12:13], v[56:59]// 0000000035BC: D3D70038 1CE219A4
	v_mfma_i32_16x16x32_i8 v[56:59], a[166:167], a[14:15], v[56:59]// 0000000035C4: D3D70038 1CE21DA6
	v_mfma_i32_16x16x32_i8 v[60:63], a[168:169], a[8:9], v[60:63]// 0000000035CC: D3D7003C 1CF211A8
	v_mfma_i32_16x16x32_i8 v[60:63], a[170:171], a[10:11], v[60:63]// 0000000035D4: D3D7003C 1CF215AA
	buffer_load_dwordx4 a[92:95], v38, s[24:27], 0 offen offset:1024// 0000000035DC: E05C1400 80865C26
	v_mfma_i32_16x16x32_i8 v[60:63], a[172:173], a[12:13], v[60:63]// 0000000035E4: D3D7003C 1CF219AC
	v_mfma_i32_16x16x32_i8 v[60:63], a[174:175], a[14:15], v[60:63]// 0000000035EC: D3D7003C 1CF21DAE
	v_mfma_i32_16x16x32_i8 v[64:67], a[176:177], a[8:9], v[64:67]// 0000000035F4: D3D70040 1D0211B0
	v_mfma_i32_16x16x32_i8 v[64:67], a[178:179], a[10:11], v[64:67]// 0000000035FC: D3D70040 1D0215B2
	buffer_load_dwordx4 a[96:99], v39, s[24:27], 0 offen       // 000000003604: E05C1000 80866027
	v_mfma_i32_16x16x32_i8 v[64:67], a[180:181], a[12:13], v[64:67]// 00000000360C: D3D70040 1D0219B4
	v_mfma_i32_16x16x32_i8 v[64:67], a[182:183], a[14:15], v[64:67]// 000000003614: D3D70040 1D021DB6
	v_mfma_i32_16x16x32_i8 v[68:71], a[184:185], a[8:9], v[68:71]// 00000000361C: D3D70044 1D1211B8
	v_mfma_i32_16x16x32_i8 v[68:71], a[186:187], a[10:11], v[68:71]// 000000003624: D3D70044 1D1215BA
	buffer_load_dwordx4 a[100:103], v39, s[24:27], 0 offen offset:1024// 00000000362C: E05C1400 80866427
	v_mfma_i32_16x16x32_i8 v[68:71], a[188:189], a[12:13], v[68:71]// 000000003634: D3D70044 1D1219BC
	v_mfma_i32_16x16x32_i8 v[68:71], a[190:191], a[14:15], v[68:71]// 00000000363C: D3D70044 1D121DBE
	v_mfma_i32_16x16x32_i8 v[72:75], a[192:193], a[8:9], v[72:75]// 000000003644: D3D70048 1D2211C0
	v_mfma_i32_16x16x32_i8 v[72:75], a[194:195], a[10:11], v[72:75]// 00000000364C: D3D70048 1D2215C2
	buffer_load_dwordx4 a[104:107], v40, s[24:27], 0 offen     // 000000003654: E05C1000 80866828
	v_mfma_i32_16x16x32_i8 v[72:75], a[196:197], a[12:13], v[72:75]// 00000000365C: D3D70048 1D2219C4
	v_mfma_i32_16x16x32_i8 v[72:75], a[198:199], a[14:15], v[72:75]// 000000003664: D3D70048 1D221DC6
	v_mfma_i32_16x16x32_i8 v[76:79], a[200:201], a[8:9], v[76:79]// 00000000366C: D3D7004C 1D3211C8
	v_mfma_i32_16x16x32_i8 v[76:79], a[202:203], a[10:11], v[76:79]// 000000003674: D3D7004C 1D3215CA
	buffer_load_dwordx4 a[108:111], v40, s[24:27], 0 offen offset:1024// 00000000367C: E05C1400 80866C28
	v_mfma_i32_16x16x32_i8 v[76:79], a[204:205], a[12:13], v[76:79]// 000000003684: D3D7004C 1D3219CC
	v_mfma_i32_16x16x32_i8 v[76:79], a[206:207], a[14:15], v[76:79]// 00000000368C: D3D7004C 1D321DCE
	buffer_load_dwordx4 a[112:115], v41, s[24:27], 0 offen     // 000000003694: E05C1000 80867029
	buffer_load_dwordx4 a[116:119], v41, s[24:27], 0 offen offset:1024// 00000000369C: E05C1400 80867429
	buffer_load_dwordx4 a[120:123], v42, s[24:27], 0 offen     // 0000000036A4: E05C1000 8086782A
	buffer_load_dwordx4 a[124:127], v42, s[24:27], 0 offen offset:1024// 0000000036AC: E05C1400 80867C2A
	buffer_load_dwordx4 a[128:131], v43, s[24:27], 0 offen     // 0000000036B4: E05C1000 8086802B
	buffer_load_dwordx4 a[132:135], v43, s[24:27], 0 offen offset:1024// 0000000036BC: E05C1400 8086842B
	buffer_load_dwordx4 a[136:139], v44, s[24:27], 0 offen     // 0000000036C4: E05C1000 8086882C
	buffer_load_dwordx4 a[140:143], v44, s[24:27], 0 offen offset:1024// 0000000036CC: E05C1400 80868C2C
	buffer_load_dword v35, s[20:23], 0 offen lds               // 0000000036D4: E0511000 80050023
	s_add_u32 m0, 0x100, s48                                   // 0000000036DC: 807C30FF 00000100
	buffer_load_dword v36, s[20:23], 0 offen lds               // 0000000036E4: E0511000 80050024
	s_add_u32 m0, 0, s49                                       // 0000000036EC: 807C3180
	s_waitcnt vmcnt(18)                                        // 0000000036F0: BF8C4F72
	s_barrier                                                  // 0000000036F4: BF8A0000
	v_mfma_i32_16x16x32_i8 v[80:83], a[16:17], a[8:9], v[80:83]// 0000000036F8: D3D70050 1D421110
	v_mfma_i32_16x16x32_i8 v[80:83], a[18:19], a[10:11], v[80:83]// 000000003700: D3D70050 1D421512
	buffer_load_dwordx4 a[144:147], v37, s[84:87], 0 offen     // 000000003708: E05C1000 80959025
	v_mfma_i32_16x16x32_i8 v[80:83], a[20:21], a[12:13], v[80:83]// 000000003710: D3D70050 1D421914
	v_mfma_i32_16x16x32_i8 v[80:83], a[22:23], a[14:15], v[80:83]// 000000003718: D3D70050 1D421D16
	ds_read_b128 a[0:3], v2 offset:4352                        // 000000003720: DBFE1100 00000002
	ds_read_b128 a[4:7], v2 offset:4416                        // 000000003728: DBFE1140 04000002
	v_mfma_i32_16x16x32_i8 v[84:87], a[24:25], a[8:9], v[84:87]// 000000003730: D3D70054 1D521118
	v_mfma_i32_16x16x32_i8 v[84:87], a[26:27], a[10:11], v[84:87]// 000000003738: D3D70054 1D52151A
	buffer_load_dwordx4 a[148:151], v37, s[84:87], 0 offen offset:1024// 000000003740: E05C1400 80959425
	v_mfma_i32_16x16x32_i8 v[84:87], a[28:29], a[12:13], v[84:87]// 000000003748: D3D70054 1D52191C
	v_mfma_i32_16x16x32_i8 v[84:87], a[30:31], a[14:15], v[84:87]// 000000003750: D3D70054 1D521D1E
	v_mfma_i32_16x16x32_i8 v[88:91], a[32:33], a[8:9], v[88:91]// 000000003758: D3D70058 1D621120
	v_mfma_i32_16x16x32_i8 v[88:91], a[34:35], a[10:11], v[88:91]// 000000003760: D3D70058 1D621522
	buffer_load_dwordx4 a[152:155], v38, s[84:87], 0 offen     // 000000003768: E05C1000 80959826
	v_mfma_i32_16x16x32_i8 v[88:91], a[36:37], a[12:13], v[88:91]// 000000003770: D3D70058 1D621924
	v_mfma_i32_16x16x32_i8 v[88:91], a[38:39], a[14:15], v[88:91]// 000000003778: D3D70058 1D621D26
	v_mfma_i32_16x16x32_i8 v[92:95], a[40:41], a[8:9], v[92:95]// 000000003780: D3D7005C 1D721128
	v_mfma_i32_16x16x32_i8 v[92:95], a[42:43], a[10:11], v[92:95]// 000000003788: D3D7005C 1D72152A
	buffer_load_dwordx4 a[156:159], v38, s[84:87], 0 offen offset:1024// 000000003790: E05C1400 80959C26
	v_mfma_i32_16x16x32_i8 v[92:95], a[44:45], a[12:13], v[92:95]// 000000003798: D3D7005C 1D72192C
	v_mfma_i32_16x16x32_i8 v[92:95], a[46:47], a[14:15], v[92:95]// 0000000037A0: D3D7005C 1D721D2E
	v_mfma_i32_16x16x32_i8 v[96:99], a[48:49], a[8:9], v[96:99]// 0000000037A8: D3D70060 1D821130
	v_mfma_i32_16x16x32_i8 v[96:99], a[50:51], a[10:11], v[96:99]// 0000000037B0: D3D70060 1D821532
	buffer_load_dwordx4 a[160:163], v39, s[84:87], 0 offen     // 0000000037B8: E05C1000 8095A027
	v_mfma_i32_16x16x32_i8 v[96:99], a[52:53], a[12:13], v[96:99]// 0000000037C0: D3D70060 1D821934
	v_mfma_i32_16x16x32_i8 v[96:99], a[54:55], a[14:15], v[96:99]// 0000000037C8: D3D70060 1D821D36
	v_mfma_i32_16x16x32_i8 v[100:103], a[56:57], a[8:9], v[100:103]// 0000000037D0: D3D70064 1D921138
	v_mfma_i32_16x16x32_i8 v[100:103], a[58:59], a[10:11], v[100:103]// 0000000037D8: D3D70064 1D92153A
	buffer_load_dwordx4 a[164:167], v39, s[84:87], 0 offen offset:1024// 0000000037E0: E05C1400 8095A427
	v_mfma_i32_16x16x32_i8 v[100:103], a[60:61], a[12:13], v[100:103]// 0000000037E8: D3D70064 1D92193C
	v_mfma_i32_16x16x32_i8 v[100:103], a[62:63], a[14:15], v[100:103]// 0000000037F0: D3D70064 1D921D3E
	v_mfma_i32_16x16x32_i8 v[104:107], a[64:65], a[8:9], v[104:107]// 0000000037F8: D3D70068 1DA21140
	s_add_u32 s60, 0x180, s80                                  // 000000003800: 803C50FF 00000180
	s_cmp_lt_u32 s60, s81                                      // 000000003808: BF0A513C
	s_cselect_b32 s57, s57, 0                                  // 00000000380C: 85398039
	v_mfma_i32_16x16x32_i8 v[104:107], a[66:67], a[10:11], v[104:107]// 000000003810: D3D70068 1DA21542
	buffer_load_dwordx4 a[168:171], v40, s[84:87], 0 offen     // 000000003818: E05C1000 8095A828
	s_add_u32 s60, 0x100, s80                                  // 000000003820: 803C50FF 00000100
	s_cmp_lt_u32 s60, s81                                      // 000000003828: BF0A513C
	s_cselect_b32 s58, s58, 0                                  // 00000000382C: 853A803A
	v_mfma_i32_16x16x32_i8 v[104:107], a[68:69], a[12:13], v[104:107]// 000000003830: D3D70068 1DA21944
	s_add_u32 s60, 0x100, s80                                  // 000000003838: 803C50FF 00000100
	s_cmp_lt_u32 s60, s81                                      // 000000003840: BF0A513C
	s_cselect_b32 s83, s83, 0                                  // 000000003844: 85538053
	v_mfma_i32_16x16x32_i8 v[104:107], a[70:71], a[14:15], v[104:107]// 000000003848: D3D70068 1DA21D46
	s_add_u32 s24, s58, s24                                    // 000000003850: 8018183A
	s_addc_u32 s25, 0, s25                                     // 000000003854: 82191980
	v_mfma_i32_16x16x32_i8 v[108:111], a[72:73], a[8:9], v[108:111]// 000000003858: D3D7006C 1DB21148
	s_add_u32 s20, s57, s20                                    // 000000003860: 80141439
	s_addc_u32 s21, 0, s21                                     // 000000003864: 82151580
	v_mfma_i32_16x16x32_i8 v[108:111], a[74:75], a[10:11], v[108:111]// 000000003868: D3D7006C 1DB2154A
	buffer_load_dwordx4 a[172:175], v40, s[84:87], 0 offen offset:1024// 000000003870: E05C1400 8095AC28
	v_mfma_i32_16x16x32_i8 v[108:111], a[76:77], a[12:13], v[108:111]// 000000003878: D3D7006C 1DB2194C
	v_mfma_i32_16x16x32_i8 v[108:111], a[78:79], a[14:15], v[108:111]// 000000003880: D3D7006C 1DB21D4E
	buffer_load_dwordx4 a[176:179], v41, s[84:87], 0 offen     // 000000003888: E05C1000 8095B029
	buffer_load_dwordx4 a[180:183], v41, s[84:87], 0 offen offset:1024// 000000003890: E05C1400 8095B429
	buffer_load_dwordx4 a[184:187], v42, s[84:87], 0 offen     // 000000003898: E05C1000 8095B82A
	buffer_load_dwordx4 a[188:191], v42, s[84:87], 0 offen offset:1024// 0000000038A0: E05C1400 8095BC2A
	buffer_load_dwordx4 a[192:195], v43, s[84:87], 0 offen     // 0000000038A8: E05C1000 8095C02B
	buffer_load_dwordx4 a[196:199], v43, s[84:87], 0 offen offset:1024// 0000000038B0: E05C1400 8095C42B
	buffer_load_dwordx4 a[200:203], v44, s[84:87], 0 offen     // 0000000038B8: E05C1000 8095C82C
	buffer_load_dwordx4 a[204:207], v44, s[84:87], 0 offen offset:1024// 0000000038C0: E05C1400 8095CC2C
	s_add_u32 s84, s83, s84                                    // 0000000038C8: 80545453
	s_addc_u32 s85, 0, s85                                     // 0000000038CC: 82555580
	s_addk_i32 s80, 0x80                                       // 0000000038D0: B7500080
	s_cmp_lt_i32 s80, s81                                      // 0000000038D4: BF045150
	s_cbranch_scc0 label_0744                                  // 0000000038D8: BF84038D
	s_waitcnt vmcnt(18) lgkmcnt(0)                             // 0000000038DC: BF8C4072
	v_mfma_i32_16x16x32_i8 v[48:51], a[80:81], a[0:1], v[48:51]// 0000000038E0: D3D70030 1CC20150
	v_mfma_i32_16x16x32_i8 v[48:51], a[82:83], a[2:3], v[48:51]// 0000000038E8: D3D70030 1CC20552
	buffer_load_dwordx4 a[16:19], v37, s[24:27], 0 offen       // 0000000038F0: E05C1000 80861025
	v_mfma_i32_16x16x32_i8 v[48:51], a[84:85], a[4:5], v[48:51]// 0000000038F8: D3D70030 1CC20954
	v_mfma_i32_16x16x32_i8 v[48:51], a[86:87], a[6:7], v[48:51]// 000000003900: D3D70030 1CC20D56
	v_mfma_i32_16x16x32_i8 v[52:55], a[88:89], a[0:1], v[52:55]// 000000003908: D3D70034 1CD20158
	v_mfma_i32_16x16x32_i8 v[52:55], a[90:91], a[2:3], v[52:55]// 000000003910: D3D70034 1CD2055A
	buffer_load_dwordx4 a[20:23], v37, s[24:27], 0 offen offset:1024// 000000003918: E05C1400 80861425
	v_mfma_i32_16x16x32_i8 v[52:55], a[92:93], a[4:5], v[52:55]// 000000003920: D3D70034 1CD2095C
	v_mfma_i32_16x16x32_i8 v[52:55], a[94:95], a[6:7], v[52:55]// 000000003928: D3D70034 1CD20D5E
	v_mfma_i32_16x16x32_i8 v[56:59], a[96:97], a[0:1], v[56:59]// 000000003930: D3D70038 1CE20160
	v_mfma_i32_16x16x32_i8 v[56:59], a[98:99], a[2:3], v[56:59]// 000000003938: D3D70038 1CE20562
	buffer_load_dwordx4 a[24:27], v38, s[24:27], 0 offen       // 000000003940: E05C1000 80861826
	v_mfma_i32_16x16x32_i8 v[56:59], a[100:101], a[4:5], v[56:59]// 000000003948: D3D70038 1CE20964
	v_mfma_i32_16x16x32_i8 v[56:59], a[102:103], a[6:7], v[56:59]// 000000003950: D3D70038 1CE20D66
	v_mfma_i32_16x16x32_i8 v[60:63], a[104:105], a[0:1], v[60:63]// 000000003958: D3D7003C 1CF20168
	v_mfma_i32_16x16x32_i8 v[60:63], a[106:107], a[2:3], v[60:63]// 000000003960: D3D7003C 1CF2056A
	buffer_load_dwordx4 a[28:31], v38, s[24:27], 0 offen offset:1024// 000000003968: E05C1400 80861C26
	v_mfma_i32_16x16x32_i8 v[60:63], a[108:109], a[4:5], v[60:63]// 000000003970: D3D7003C 1CF2096C
	v_mfma_i32_16x16x32_i8 v[60:63], a[110:111], a[6:7], v[60:63]// 000000003978: D3D7003C 1CF20D6E
	v_mfma_i32_16x16x32_i8 v[64:67], a[112:113], a[0:1], v[64:67]// 000000003980: D3D70040 1D020170
	v_mfma_i32_16x16x32_i8 v[64:67], a[114:115], a[2:3], v[64:67]// 000000003988: D3D70040 1D020572
	buffer_load_dwordx4 a[32:35], v39, s[24:27], 0 offen       // 000000003990: E05C1000 80862027
	v_mfma_i32_16x16x32_i8 v[64:67], a[116:117], a[4:5], v[64:67]// 000000003998: D3D70040 1D020974
	v_mfma_i32_16x16x32_i8 v[64:67], a[118:119], a[6:7], v[64:67]// 0000000039A0: D3D70040 1D020D76
	v_mfma_i32_16x16x32_i8 v[68:71], a[120:121], a[0:1], v[68:71]// 0000000039A8: D3D70044 1D120178
	v_mfma_i32_16x16x32_i8 v[68:71], a[122:123], a[2:3], v[68:71]// 0000000039B0: D3D70044 1D12057A
	buffer_load_dwordx4 a[36:39], v39, s[24:27], 0 offen offset:1024// 0000000039B8: E05C1400 80862427
	v_mfma_i32_16x16x32_i8 v[68:71], a[124:125], a[4:5], v[68:71]// 0000000039C0: D3D70044 1D12097C
	v_mfma_i32_16x16x32_i8 v[68:71], a[126:127], a[6:7], v[68:71]// 0000000039C8: D3D70044 1D120D7E
	v_mfma_i32_16x16x32_i8 v[72:75], a[128:129], a[0:1], v[72:75]// 0000000039D0: D3D70048 1D220180
	v_mfma_i32_16x16x32_i8 v[72:75], a[130:131], a[2:3], v[72:75]// 0000000039D8: D3D70048 1D220582
	buffer_load_dwordx4 a[40:43], v40, s[24:27], 0 offen       // 0000000039E0: E05C1000 80862828
	v_mfma_i32_16x16x32_i8 v[72:75], a[132:133], a[4:5], v[72:75]// 0000000039E8: D3D70048 1D220984
	v_mfma_i32_16x16x32_i8 v[72:75], a[134:135], a[6:7], v[72:75]// 0000000039F0: D3D70048 1D220D86
	v_mfma_i32_16x16x32_i8 v[76:79], a[136:137], a[0:1], v[76:79]// 0000000039F8: D3D7004C 1D320188
	v_mfma_i32_16x16x32_i8 v[76:79], a[138:139], a[2:3], v[76:79]// 000000003A00: D3D7004C 1D32058A
	buffer_load_dwordx4 a[44:47], v40, s[24:27], 0 offen offset:1024// 000000003A08: E05C1400 80862C28
	v_mfma_i32_16x16x32_i8 v[76:79], a[140:141], a[4:5], v[76:79]// 000000003A10: D3D7004C 1D32098C
	v_mfma_i32_16x16x32_i8 v[76:79], a[142:143], a[6:7], v[76:79]// 000000003A18: D3D7004C 1D320D8E
	buffer_load_dwordx4 a[48:51], v41, s[24:27], 0 offen       // 000000003A20: E05C1000 80863029
	buffer_load_dwordx4 a[52:55], v41, s[24:27], 0 offen offset:1024// 000000003A28: E05C1400 80863429
	buffer_load_dwordx4 a[56:59], v42, s[24:27], 0 offen       // 000000003A30: E05C1000 8086382A
	buffer_load_dwordx4 a[60:63], v42, s[24:27], 0 offen offset:1024// 000000003A38: E05C1400 80863C2A
	buffer_load_dwordx4 a[64:67], v43, s[24:27], 0 offen       // 000000003A40: E05C1000 8086402B
	buffer_load_dwordx4 a[68:71], v43, s[24:27], 0 offen offset:1024// 000000003A48: E05C1400 8086442B
	buffer_load_dwordx4 a[72:75], v44, s[24:27], 0 offen       // 000000003A50: E05C1000 8086482C
	buffer_load_dwordx4 a[76:79], v44, s[24:27], 0 offen offset:1024// 000000003A58: E05C1400 80864C2C
	buffer_load_dword v35, s[20:23], 0 offen lds               // 000000003A60: E0511000 80050023
	s_add_u32 m0, 0x100, s49                                   // 000000003A68: 807C31FF 00000100
	buffer_load_dword v36, s[20:23], 0 offen lds               // 000000003A70: E0511000 80050024
	s_add_u32 m0, 0, s50                                       // 000000003A78: 807C3280
	s_waitcnt vmcnt(18)                                        // 000000003A7C: BF8C4F72
	s_barrier                                                  // 000000003A80: BF8A0000
	v_mfma_i32_16x16x32_i8 v[80:83], a[144:145], a[0:1], v[80:83]// 000000003A84: D3D70050 1D420190
	v_mfma_i32_16x16x32_i8 v[80:83], a[146:147], a[2:3], v[80:83]// 000000003A8C: D3D70050 1D420592
	buffer_load_dwordx4 a[80:83], v37, s[84:87], 0 offen       // 000000003A94: E05C1000 80955025
	v_mfma_i32_16x16x32_i8 v[80:83], a[148:149], a[4:5], v[80:83]// 000000003A9C: D3D70050 1D420994
	v_mfma_i32_16x16x32_i8 v[80:83], a[150:151], a[6:7], v[80:83]// 000000003AA4: D3D70050 1D420D96
	ds_read_b128 a[8:11], v2                                   // 000000003AAC: DBFE0000 08000002
	ds_read_b128 a[12:15], v2 offset:64                        // 000000003AB4: DBFE0040 0C000002
	v_mfma_i32_16x16x32_i8 v[84:87], a[152:153], a[0:1], v[84:87]// 000000003ABC: D3D70054 1D520198
	v_mfma_i32_16x16x32_i8 v[84:87], a[154:155], a[2:3], v[84:87]// 000000003AC4: D3D70054 1D52059A
	buffer_load_dwordx4 a[84:87], v37, s[84:87], 0 offen offset:1024// 000000003ACC: E05C1400 80955425
	v_mfma_i32_16x16x32_i8 v[84:87], a[156:157], a[4:5], v[84:87]// 000000003AD4: D3D70054 1D52099C
	v_mfma_i32_16x16x32_i8 v[84:87], a[158:159], a[6:7], v[84:87]// 000000003ADC: D3D70054 1D520D9E
	v_mfma_i32_16x16x32_i8 v[88:91], a[160:161], a[0:1], v[88:91]// 000000003AE4: D3D70058 1D6201A0
	v_mfma_i32_16x16x32_i8 v[88:91], a[162:163], a[2:3], v[88:91]// 000000003AEC: D3D70058 1D6205A2
	buffer_load_dwordx4 a[88:91], v38, s[84:87], 0 offen       // 000000003AF4: E05C1000 80955826
	v_mfma_i32_16x16x32_i8 v[88:91], a[164:165], a[4:5], v[88:91]// 000000003AFC: D3D70058 1D6209A4
	v_mfma_i32_16x16x32_i8 v[88:91], a[166:167], a[6:7], v[88:91]// 000000003B04: D3D70058 1D620DA6
	v_mfma_i32_16x16x32_i8 v[92:95], a[168:169], a[0:1], v[92:95]// 000000003B0C: D3D7005C 1D7201A8
	v_mfma_i32_16x16x32_i8 v[92:95], a[170:171], a[2:3], v[92:95]// 000000003B14: D3D7005C 1D7205AA
	buffer_load_dwordx4 a[92:95], v38, s[84:87], 0 offen offset:1024// 000000003B1C: E05C1400 80955C26
	v_mfma_i32_16x16x32_i8 v[92:95], a[172:173], a[4:5], v[92:95]// 000000003B24: D3D7005C 1D7209AC
	v_mfma_i32_16x16x32_i8 v[92:95], a[174:175], a[6:7], v[92:95]// 000000003B2C: D3D7005C 1D720DAE
	v_mfma_i32_16x16x32_i8 v[96:99], a[176:177], a[0:1], v[96:99]// 000000003B34: D3D70060 1D8201B0
	v_mfma_i32_16x16x32_i8 v[96:99], a[178:179], a[2:3], v[96:99]// 000000003B3C: D3D70060 1D8205B2
	buffer_load_dwordx4 a[96:99], v39, s[84:87], 0 offen       // 000000003B44: E05C1000 80956027
	v_mfma_i32_16x16x32_i8 v[96:99], a[180:181], a[4:5], v[96:99]// 000000003B4C: D3D70060 1D8209B4
	v_mfma_i32_16x16x32_i8 v[96:99], a[182:183], a[6:7], v[96:99]// 000000003B54: D3D70060 1D820DB6
	v_mfma_i32_16x16x32_i8 v[100:103], a[184:185], a[0:1], v[100:103]// 000000003B5C: D3D70064 1D9201B8
	v_mfma_i32_16x16x32_i8 v[100:103], a[186:187], a[2:3], v[100:103]// 000000003B64: D3D70064 1D9205BA
	buffer_load_dwordx4 a[100:103], v39, s[84:87], 0 offen offset:1024// 000000003B6C: E05C1400 80956427
	v_mfma_i32_16x16x32_i8 v[100:103], a[188:189], a[4:5], v[100:103]// 000000003B74: D3D70064 1D9209BC
	v_mfma_i32_16x16x32_i8 v[100:103], a[190:191], a[6:7], v[100:103]// 000000003B7C: D3D70064 1D920DBE
	v_mfma_i32_16x16x32_i8 v[104:107], a[192:193], a[0:1], v[104:107]// 000000003B84: D3D70068 1DA201C0
	s_add_u32 s60, 0x180, s80                                  // 000000003B8C: 803C50FF 00000180
	s_cmp_lt_u32 s60, s81                                      // 000000003B94: BF0A513C
	s_cselect_b32 s57, s57, 0                                  // 000000003B98: 85398039
	v_mfma_i32_16x16x32_i8 v[104:107], a[194:195], a[2:3], v[104:107]// 000000003B9C: D3D70068 1DA205C2
	buffer_load_dwordx4 a[104:107], v40, s[84:87], 0 offen     // 000000003BA4: E05C1000 80956828
	s_add_u32 s60, 0x100, s80                                  // 000000003BAC: 803C50FF 00000100
	s_cmp_lt_u32 s60, s81                                      // 000000003BB4: BF0A513C
	s_cselect_b32 s58, s58, 0                                  // 000000003BB8: 853A803A
	v_mfma_i32_16x16x32_i8 v[104:107], a[196:197], a[4:5], v[104:107]// 000000003BBC: D3D70068 1DA209C4
	s_add_u32 s60, 0x100, s80                                  // 000000003BC4: 803C50FF 00000100
	s_cmp_lt_u32 s60, s81                                      // 000000003BCC: BF0A513C
	s_cselect_b32 s83, s83, 0                                  // 000000003BD0: 85538053
	v_mfma_i32_16x16x32_i8 v[104:107], a[198:199], a[6:7], v[104:107]// 000000003BD4: D3D70068 1DA20DC6
	s_add_u32 s24, s58, s24                                    // 000000003BDC: 8018183A
	s_addc_u32 s25, 0, s25                                     // 000000003BE0: 82191980
	v_mfma_i32_16x16x32_i8 v[108:111], a[200:201], a[0:1], v[108:111]// 000000003BE4: D3D7006C 1DB201C8
	s_add_u32 s20, s57, s20                                    // 000000003BEC: 80141439
	s_addc_u32 s21, 0, s21                                     // 000000003BF0: 82151580
	v_mfma_i32_16x16x32_i8 v[108:111], a[202:203], a[2:3], v[108:111]// 000000003BF4: D3D7006C 1DB205CA
	buffer_load_dwordx4 a[108:111], v40, s[84:87], 0 offen offset:1024// 000000003BFC: E05C1400 80956C28
	v_mfma_i32_16x16x32_i8 v[108:111], a[204:205], a[4:5], v[108:111]// 000000003C04: D3D7006C 1DB209CC
	v_mfma_i32_16x16x32_i8 v[108:111], a[206:207], a[6:7], v[108:111]// 000000003C0C: D3D7006C 1DB20DCE
	buffer_load_dwordx4 a[112:115], v41, s[84:87], 0 offen     // 000000003C14: E05C1000 80957029
	buffer_load_dwordx4 a[116:119], v41, s[84:87], 0 offen offset:1024// 000000003C1C: E05C1400 80957429
	buffer_load_dwordx4 a[120:123], v42, s[84:87], 0 offen     // 000000003C24: E05C1000 8095782A
	buffer_load_dwordx4 a[124:127], v42, s[84:87], 0 offen offset:1024// 000000003C2C: E05C1400 80957C2A
	buffer_load_dwordx4 a[128:131], v43, s[84:87], 0 offen     // 000000003C34: E05C1000 8095802B
	buffer_load_dwordx4 a[132:135], v43, s[84:87], 0 offen offset:1024// 000000003C3C: E05C1400 8095842B
	buffer_load_dwordx4 a[136:139], v44, s[84:87], 0 offen     // 000000003C44: E05C1000 8095882C
	buffer_load_dwordx4 a[140:143], v44, s[84:87], 0 offen offset:1024// 000000003C4C: E05C1400 80958C2C
	s_add_u32 s84, s83, s84                                    // 000000003C54: 80545453
	s_addc_u32 s85, 0, s85                                     // 000000003C58: 82555580
	s_addk_i32 s80, 0x80                                       // 000000003C5C: B7500080
	s_cmp_lt_i32 s80, s81                                      // 000000003C60: BF045150
	s_cbranch_scc0 label_0744                                  // 000000003C64: BF8402AA
	s_waitcnt vmcnt(18) lgkmcnt(0)                             // 000000003C68: BF8C4072
	v_mfma_i32_16x16x32_i8 v[48:51], a[16:17], a[8:9], v[48:51]// 000000003C6C: D3D70030 1CC21110
	v_mfma_i32_16x16x32_i8 v[48:51], a[18:19], a[10:11], v[48:51]// 000000003C74: D3D70030 1CC21512
	buffer_load_dwordx4 a[144:147], v37, s[24:27], 0 offen     // 000000003C7C: E05C1000 80869025
	v_mfma_i32_16x16x32_i8 v[48:51], a[20:21], a[12:13], v[48:51]// 000000003C84: D3D70030 1CC21914
	v_mfma_i32_16x16x32_i8 v[48:51], a[22:23], a[14:15], v[48:51]// 000000003C8C: D3D70030 1CC21D16
	v_mfma_i32_16x16x32_i8 v[52:55], a[24:25], a[8:9], v[52:55]// 000000003C94: D3D70034 1CD21118
	v_mfma_i32_16x16x32_i8 v[52:55], a[26:27], a[10:11], v[52:55]// 000000003C9C: D3D70034 1CD2151A
	buffer_load_dwordx4 a[148:151], v37, s[24:27], 0 offen offset:1024// 000000003CA4: E05C1400 80869425
	v_mfma_i32_16x16x32_i8 v[52:55], a[28:29], a[12:13], v[52:55]// 000000003CAC: D3D70034 1CD2191C
	v_mfma_i32_16x16x32_i8 v[52:55], a[30:31], a[14:15], v[52:55]// 000000003CB4: D3D70034 1CD21D1E
	v_mfma_i32_16x16x32_i8 v[56:59], a[32:33], a[8:9], v[56:59]// 000000003CBC: D3D70038 1CE21120
	v_mfma_i32_16x16x32_i8 v[56:59], a[34:35], a[10:11], v[56:59]// 000000003CC4: D3D70038 1CE21522
	buffer_load_dwordx4 a[152:155], v38, s[24:27], 0 offen     // 000000003CCC: E05C1000 80869826
	v_mfma_i32_16x16x32_i8 v[56:59], a[36:37], a[12:13], v[56:59]// 000000003CD4: D3D70038 1CE21924
	v_mfma_i32_16x16x32_i8 v[56:59], a[38:39], a[14:15], v[56:59]// 000000003CDC: D3D70038 1CE21D26
	v_mfma_i32_16x16x32_i8 v[60:63], a[40:41], a[8:9], v[60:63]// 000000003CE4: D3D7003C 1CF21128
	v_mfma_i32_16x16x32_i8 v[60:63], a[42:43], a[10:11], v[60:63]// 000000003CEC: D3D7003C 1CF2152A
	buffer_load_dwordx4 a[156:159], v38, s[24:27], 0 offen offset:1024// 000000003CF4: E05C1400 80869C26
	v_mfma_i32_16x16x32_i8 v[60:63], a[44:45], a[12:13], v[60:63]// 000000003CFC: D3D7003C 1CF2192C
	v_mfma_i32_16x16x32_i8 v[60:63], a[46:47], a[14:15], v[60:63]// 000000003D04: D3D7003C 1CF21D2E
	v_mfma_i32_16x16x32_i8 v[64:67], a[48:49], a[8:9], v[64:67]// 000000003D0C: D3D70040 1D021130
	v_mfma_i32_16x16x32_i8 v[64:67], a[50:51], a[10:11], v[64:67]// 000000003D14: D3D70040 1D021532
	buffer_load_dwordx4 a[160:163], v39, s[24:27], 0 offen     // 000000003D1C: E05C1000 8086A027
	v_mfma_i32_16x16x32_i8 v[64:67], a[52:53], a[12:13], v[64:67]// 000000003D24: D3D70040 1D021934
	v_mfma_i32_16x16x32_i8 v[64:67], a[54:55], a[14:15], v[64:67]// 000000003D2C: D3D70040 1D021D36
	v_mfma_i32_16x16x32_i8 v[68:71], a[56:57], a[8:9], v[68:71]// 000000003D34: D3D70044 1D121138
	v_mfma_i32_16x16x32_i8 v[68:71], a[58:59], a[10:11], v[68:71]// 000000003D3C: D3D70044 1D12153A
	buffer_load_dwordx4 a[164:167], v39, s[24:27], 0 offen offset:1024// 000000003D44: E05C1400 8086A427
	v_mfma_i32_16x16x32_i8 v[68:71], a[60:61], a[12:13], v[68:71]// 000000003D4C: D3D70044 1D12193C
	v_mfma_i32_16x16x32_i8 v[68:71], a[62:63], a[14:15], v[68:71]// 000000003D54: D3D70044 1D121D3E
	v_mfma_i32_16x16x32_i8 v[72:75], a[64:65], a[8:9], v[72:75]// 000000003D5C: D3D70048 1D221140
	v_mfma_i32_16x16x32_i8 v[72:75], a[66:67], a[10:11], v[72:75]// 000000003D64: D3D70048 1D221542
	buffer_load_dwordx4 a[168:171], v40, s[24:27], 0 offen     // 000000003D6C: E05C1000 8086A828
	v_mfma_i32_16x16x32_i8 v[72:75], a[68:69], a[12:13], v[72:75]// 000000003D74: D3D70048 1D221944
	v_mfma_i32_16x16x32_i8 v[72:75], a[70:71], a[14:15], v[72:75]// 000000003D7C: D3D70048 1D221D46
	v_mfma_i32_16x16x32_i8 v[76:79], a[72:73], a[8:9], v[76:79]// 000000003D84: D3D7004C 1D321148
	v_mfma_i32_16x16x32_i8 v[76:79], a[74:75], a[10:11], v[76:79]// 000000003D8C: D3D7004C 1D32154A
	buffer_load_dwordx4 a[172:175], v40, s[24:27], 0 offen offset:1024// 000000003D94: E05C1400 8086AC28
	v_mfma_i32_16x16x32_i8 v[76:79], a[76:77], a[12:13], v[76:79]// 000000003D9C: D3D7004C 1D32194C
	v_mfma_i32_16x16x32_i8 v[76:79], a[78:79], a[14:15], v[76:79]// 000000003DA4: D3D7004C 1D321D4E
	buffer_load_dwordx4 a[176:179], v41, s[24:27], 0 offen     // 000000003DAC: E05C1000 8086B029
	buffer_load_dwordx4 a[180:183], v41, s[24:27], 0 offen offset:1024// 000000003DB4: E05C1400 8086B429
	buffer_load_dwordx4 a[184:187], v42, s[24:27], 0 offen     // 000000003DBC: E05C1000 8086B82A
	buffer_load_dwordx4 a[188:191], v42, s[24:27], 0 offen offset:1024// 000000003DC4: E05C1400 8086BC2A
	buffer_load_dwordx4 a[192:195], v43, s[24:27], 0 offen     // 000000003DCC: E05C1000 8086C02B
	buffer_load_dwordx4 a[196:199], v43, s[24:27], 0 offen offset:1024// 000000003DD4: E05C1400 8086C42B
	buffer_load_dwordx4 a[200:203], v44, s[24:27], 0 offen     // 000000003DDC: E05C1000 8086C82C
	buffer_load_dwordx4 a[204:207], v44, s[24:27], 0 offen offset:1024// 000000003DE4: E05C1400 8086CC2C
	buffer_load_dword v35, s[20:23], 0 offen lds               // 000000003DEC: E0511000 80050023
	s_add_u32 m0, 0x100, s50                                   // 000000003DF4: 807C32FF 00000100
	buffer_load_dword v36, s[20:23], 0 offen lds               // 000000003DFC: E0511000 80050024
	s_add_u32 m0, 0, s48                                       // 000000003E04: 807C3080
	s_waitcnt vmcnt(18)                                        // 000000003E08: BF8C4F72
	s_barrier                                                  // 000000003E0C: BF8A0000
	v_mfma_i32_16x16x32_i8 v[80:83], a[80:81], a[8:9], v[80:83]// 000000003E10: D3D70050 1D421150
	v_mfma_i32_16x16x32_i8 v[80:83], a[82:83], a[10:11], v[80:83]// 000000003E18: D3D70050 1D421552
	buffer_load_dwordx4 a[16:19], v37, s[84:87], 0 offen       // 000000003E20: E05C1000 80951025
	v_mfma_i32_16x16x32_i8 v[80:83], a[84:85], a[12:13], v[80:83]// 000000003E28: D3D70050 1D421954
	v_mfma_i32_16x16x32_i8 v[80:83], a[86:87], a[14:15], v[80:83]// 000000003E30: D3D70050 1D421D56
	ds_read_b128 a[0:3], v2 offset:2176                        // 000000003E38: DBFE0880 00000002
	ds_read_b128 a[4:7], v2 offset:2240                        // 000000003E40: DBFE08C0 04000002
	v_mfma_i32_16x16x32_i8 v[84:87], a[88:89], a[8:9], v[84:87]// 000000003E48: D3D70054 1D521158
	v_mfma_i32_16x16x32_i8 v[84:87], a[90:91], a[10:11], v[84:87]// 000000003E50: D3D70054 1D52155A
	buffer_load_dwordx4 a[20:23], v37, s[84:87], 0 offen offset:1024// 000000003E58: E05C1400 80951425
	v_mfma_i32_16x16x32_i8 v[84:87], a[92:93], a[12:13], v[84:87]// 000000003E60: D3D70054 1D52195C
	v_mfma_i32_16x16x32_i8 v[84:87], a[94:95], a[14:15], v[84:87]// 000000003E68: D3D70054 1D521D5E
	v_mfma_i32_16x16x32_i8 v[88:91], a[96:97], a[8:9], v[88:91]// 000000003E70: D3D70058 1D621160
	v_mfma_i32_16x16x32_i8 v[88:91], a[98:99], a[10:11], v[88:91]// 000000003E78: D3D70058 1D621562
	buffer_load_dwordx4 a[24:27], v38, s[84:87], 0 offen       // 000000003E80: E05C1000 80951826
	v_mfma_i32_16x16x32_i8 v[88:91], a[100:101], a[12:13], v[88:91]// 000000003E88: D3D70058 1D621964
	v_mfma_i32_16x16x32_i8 v[88:91], a[102:103], a[14:15], v[88:91]// 000000003E90: D3D70058 1D621D66
	v_mfma_i32_16x16x32_i8 v[92:95], a[104:105], a[8:9], v[92:95]// 000000003E98: D3D7005C 1D721168
	v_mfma_i32_16x16x32_i8 v[92:95], a[106:107], a[10:11], v[92:95]// 000000003EA0: D3D7005C 1D72156A
	buffer_load_dwordx4 a[28:31], v38, s[84:87], 0 offen offset:1024// 000000003EA8: E05C1400 80951C26
	v_mfma_i32_16x16x32_i8 v[92:95], a[108:109], a[12:13], v[92:95]// 000000003EB0: D3D7005C 1D72196C
	v_mfma_i32_16x16x32_i8 v[92:95], a[110:111], a[14:15], v[92:95]// 000000003EB8: D3D7005C 1D721D6E
	v_mfma_i32_16x16x32_i8 v[96:99], a[112:113], a[8:9], v[96:99]// 000000003EC0: D3D70060 1D821170
	v_mfma_i32_16x16x32_i8 v[96:99], a[114:115], a[10:11], v[96:99]// 000000003EC8: D3D70060 1D821572
	buffer_load_dwordx4 a[32:35], v39, s[84:87], 0 offen       // 000000003ED0: E05C1000 80952027
	v_mfma_i32_16x16x32_i8 v[96:99], a[116:117], a[12:13], v[96:99]// 000000003ED8: D3D70060 1D821974
	v_mfma_i32_16x16x32_i8 v[96:99], a[118:119], a[14:15], v[96:99]// 000000003EE0: D3D70060 1D821D76
	v_mfma_i32_16x16x32_i8 v[100:103], a[120:121], a[8:9], v[100:103]// 000000003EE8: D3D70064 1D921178
	v_mfma_i32_16x16x32_i8 v[100:103], a[122:123], a[10:11], v[100:103]// 000000003EF0: D3D70064 1D92157A
	buffer_load_dwordx4 a[36:39], v39, s[84:87], 0 offen offset:1024// 000000003EF8: E05C1400 80952427
	v_mfma_i32_16x16x32_i8 v[100:103], a[124:125], a[12:13], v[100:103]// 000000003F00: D3D70064 1D92197C
	v_mfma_i32_16x16x32_i8 v[100:103], a[126:127], a[14:15], v[100:103]// 000000003F08: D3D70064 1D921D7E
	v_mfma_i32_16x16x32_i8 v[104:107], a[128:129], a[8:9], v[104:107]// 000000003F10: D3D70068 1DA21180
	s_add_u32 s60, 0x180, s80                                  // 000000003F18: 803C50FF 00000180
	s_cmp_lt_u32 s60, s81                                      // 000000003F20: BF0A513C
	s_cselect_b32 s57, s57, 0                                  // 000000003F24: 85398039
	v_mfma_i32_16x16x32_i8 v[104:107], a[130:131], a[10:11], v[104:107]// 000000003F28: D3D70068 1DA21582
	buffer_load_dwordx4 a[40:43], v40, s[84:87], 0 offen       // 000000003F30: E05C1000 80952828
	s_add_u32 s60, 0x100, s80                                  // 000000003F38: 803C50FF 00000100
	s_cmp_lt_u32 s60, s81                                      // 000000003F40: BF0A513C
	s_cselect_b32 s58, s58, 0                                  // 000000003F44: 853A803A
	v_mfma_i32_16x16x32_i8 v[104:107], a[132:133], a[12:13], v[104:107]// 000000003F48: D3D70068 1DA21984
	s_add_u32 s60, 0x100, s80                                  // 000000003F50: 803C50FF 00000100
	s_cmp_lt_u32 s60, s81                                      // 000000003F58: BF0A513C
	s_cselect_b32 s83, s83, 0                                  // 000000003F5C: 85538053
	v_mfma_i32_16x16x32_i8 v[104:107], a[134:135], a[14:15], v[104:107]// 000000003F60: D3D70068 1DA21D86
	s_add_u32 s24, s58, s24                                    // 000000003F68: 8018183A
	s_addc_u32 s25, 0, s25                                     // 000000003F6C: 82191980
	v_mfma_i32_16x16x32_i8 v[108:111], a[136:137], a[8:9], v[108:111]// 000000003F70: D3D7006C 1DB21188
	s_add_u32 s20, s57, s20                                    // 000000003F78: 80141439
	s_addc_u32 s21, 0, s21                                     // 000000003F7C: 82151580
	v_mfma_i32_16x16x32_i8 v[108:111], a[138:139], a[10:11], v[108:111]// 000000003F80: D3D7006C 1DB2158A
	buffer_load_dwordx4 a[44:47], v40, s[84:87], 0 offen offset:1024// 000000003F88: E05C1400 80952C28
	v_mfma_i32_16x16x32_i8 v[108:111], a[140:141], a[12:13], v[108:111]// 000000003F90: D3D7006C 1DB2198C
	v_mfma_i32_16x16x32_i8 v[108:111], a[142:143], a[14:15], v[108:111]// 000000003F98: D3D7006C 1DB21D8E
	buffer_load_dwordx4 a[48:51], v41, s[84:87], 0 offen       // 000000003FA0: E05C1000 80953029
	buffer_load_dwordx4 a[52:55], v41, s[84:87], 0 offen offset:1024// 000000003FA8: E05C1400 80953429
	buffer_load_dwordx4 a[56:59], v42, s[84:87], 0 offen       // 000000003FB0: E05C1000 8095382A
	buffer_load_dwordx4 a[60:63], v42, s[84:87], 0 offen offset:1024// 000000003FB8: E05C1400 80953C2A
	buffer_load_dwordx4 a[64:67], v43, s[84:87], 0 offen       // 000000003FC0: E05C1000 8095402B
	buffer_load_dwordx4 a[68:71], v43, s[84:87], 0 offen offset:1024// 000000003FC8: E05C1400 8095442B
	buffer_load_dwordx4 a[72:75], v44, s[84:87], 0 offen       // 000000003FD0: E05C1000 8095482C
	buffer_load_dwordx4 a[76:79], v44, s[84:87], 0 offen offset:1024// 000000003FD8: E05C1400 80954C2C
	s_add_u32 s84, s83, s84                                    // 000000003FE0: 80545453
	s_addc_u32 s85, 0, s85                                     // 000000003FE4: 82555580
	s_addk_i32 s80, 0x80                                       // 000000003FE8: B7500080
	s_cmp_lt_i32 s80, s81                                      // 000000003FEC: BF045150
	s_cbranch_scc0 label_0744                                  // 000000003FF0: BF8401C7
	s_waitcnt vmcnt(18) lgkmcnt(0)                             // 000000003FF4: BF8C4072
	v_mfma_i32_16x16x32_i8 v[48:51], a[144:145], a[0:1], v[48:51]// 000000003FF8: D3D70030 1CC20190
	v_mfma_i32_16x16x32_i8 v[48:51], a[146:147], a[2:3], v[48:51]// 000000004000: D3D70030 1CC20592
	buffer_load_dwordx4 a[80:83], v37, s[24:27], 0 offen       // 000000004008: E05C1000 80865025
	v_mfma_i32_16x16x32_i8 v[48:51], a[148:149], a[4:5], v[48:51]// 000000004010: D3D70030 1CC20994
	v_mfma_i32_16x16x32_i8 v[48:51], a[150:151], a[6:7], v[48:51]// 000000004018: D3D70030 1CC20D96
	v_mfma_i32_16x16x32_i8 v[52:55], a[152:153], a[0:1], v[52:55]// 000000004020: D3D70034 1CD20198
	v_mfma_i32_16x16x32_i8 v[52:55], a[154:155], a[2:3], v[52:55]// 000000004028: D3D70034 1CD2059A
	buffer_load_dwordx4 a[84:87], v37, s[24:27], 0 offen offset:1024// 000000004030: E05C1400 80865425
	v_mfma_i32_16x16x32_i8 v[52:55], a[156:157], a[4:5], v[52:55]// 000000004038: D3D70034 1CD2099C
	v_mfma_i32_16x16x32_i8 v[52:55], a[158:159], a[6:7], v[52:55]// 000000004040: D3D70034 1CD20D9E
	v_mfma_i32_16x16x32_i8 v[56:59], a[160:161], a[0:1], v[56:59]// 000000004048: D3D70038 1CE201A0
	v_mfma_i32_16x16x32_i8 v[56:59], a[162:163], a[2:3], v[56:59]// 000000004050: D3D70038 1CE205A2
	buffer_load_dwordx4 a[88:91], v38, s[24:27], 0 offen       // 000000004058: E05C1000 80865826
	v_mfma_i32_16x16x32_i8 v[56:59], a[164:165], a[4:5], v[56:59]// 000000004060: D3D70038 1CE209A4
	v_mfma_i32_16x16x32_i8 v[56:59], a[166:167], a[6:7], v[56:59]// 000000004068: D3D70038 1CE20DA6
	v_mfma_i32_16x16x32_i8 v[60:63], a[168:169], a[0:1], v[60:63]// 000000004070: D3D7003C 1CF201A8
	v_mfma_i32_16x16x32_i8 v[60:63], a[170:171], a[2:3], v[60:63]// 000000004078: D3D7003C 1CF205AA
	buffer_load_dwordx4 a[92:95], v38, s[24:27], 0 offen offset:1024// 000000004080: E05C1400 80865C26
	v_mfma_i32_16x16x32_i8 v[60:63], a[172:173], a[4:5], v[60:63]// 000000004088: D3D7003C 1CF209AC
	v_mfma_i32_16x16x32_i8 v[60:63], a[174:175], a[6:7], v[60:63]// 000000004090: D3D7003C 1CF20DAE
	v_mfma_i32_16x16x32_i8 v[64:67], a[176:177], a[0:1], v[64:67]// 000000004098: D3D70040 1D0201B0
	v_mfma_i32_16x16x32_i8 v[64:67], a[178:179], a[2:3], v[64:67]// 0000000040A0: D3D70040 1D0205B2
	buffer_load_dwordx4 a[96:99], v39, s[24:27], 0 offen       // 0000000040A8: E05C1000 80866027
	v_mfma_i32_16x16x32_i8 v[64:67], a[180:181], a[4:5], v[64:67]// 0000000040B0: D3D70040 1D0209B4
	v_mfma_i32_16x16x32_i8 v[64:67], a[182:183], a[6:7], v[64:67]// 0000000040B8: D3D70040 1D020DB6
	v_mfma_i32_16x16x32_i8 v[68:71], a[184:185], a[0:1], v[68:71]// 0000000040C0: D3D70044 1D1201B8
	v_mfma_i32_16x16x32_i8 v[68:71], a[186:187], a[2:3], v[68:71]// 0000000040C8: D3D70044 1D1205BA
	buffer_load_dwordx4 a[100:103], v39, s[24:27], 0 offen offset:1024// 0000000040D0: E05C1400 80866427
	v_mfma_i32_16x16x32_i8 v[68:71], a[188:189], a[4:5], v[68:71]// 0000000040D8: D3D70044 1D1209BC
	v_mfma_i32_16x16x32_i8 v[68:71], a[190:191], a[6:7], v[68:71]// 0000000040E0: D3D70044 1D120DBE
	v_mfma_i32_16x16x32_i8 v[72:75], a[192:193], a[0:1], v[72:75]// 0000000040E8: D3D70048 1D2201C0
	v_mfma_i32_16x16x32_i8 v[72:75], a[194:195], a[2:3], v[72:75]// 0000000040F0: D3D70048 1D2205C2
	buffer_load_dwordx4 a[104:107], v40, s[24:27], 0 offen     // 0000000040F8: E05C1000 80866828
	v_mfma_i32_16x16x32_i8 v[72:75], a[196:197], a[4:5], v[72:75]// 000000004100: D3D70048 1D2209C4
	v_mfma_i32_16x16x32_i8 v[72:75], a[198:199], a[6:7], v[72:75]// 000000004108: D3D70048 1D220DC6
	v_mfma_i32_16x16x32_i8 v[76:79], a[200:201], a[0:1], v[76:79]// 000000004110: D3D7004C 1D3201C8
	v_mfma_i32_16x16x32_i8 v[76:79], a[202:203], a[2:3], v[76:79]// 000000004118: D3D7004C 1D3205CA
	buffer_load_dwordx4 a[108:111], v40, s[24:27], 0 offen offset:1024// 000000004120: E05C1400 80866C28
	v_mfma_i32_16x16x32_i8 v[76:79], a[204:205], a[4:5], v[76:79]// 000000004128: D3D7004C 1D3209CC
	v_mfma_i32_16x16x32_i8 v[76:79], a[206:207], a[6:7], v[76:79]// 000000004130: D3D7004C 1D320DCE
	buffer_load_dwordx4 a[112:115], v41, s[24:27], 0 offen     // 000000004138: E05C1000 80867029
	buffer_load_dwordx4 a[116:119], v41, s[24:27], 0 offen offset:1024// 000000004140: E05C1400 80867429
	buffer_load_dwordx4 a[120:123], v42, s[24:27], 0 offen     // 000000004148: E05C1000 8086782A
	buffer_load_dwordx4 a[124:127], v42, s[24:27], 0 offen offset:1024// 000000004150: E05C1400 80867C2A
	buffer_load_dwordx4 a[128:131], v43, s[24:27], 0 offen     // 000000004158: E05C1000 8086802B
	buffer_load_dwordx4 a[132:135], v43, s[24:27], 0 offen offset:1024// 000000004160: E05C1400 8086842B
	buffer_load_dwordx4 a[136:139], v44, s[24:27], 0 offen     // 000000004168: E05C1000 8086882C
	buffer_load_dwordx4 a[140:143], v44, s[24:27], 0 offen offset:1024// 000000004170: E05C1400 80868C2C
	buffer_load_dword v35, s[20:23], 0 offen lds               // 000000004178: E0511000 80050023
	s_add_u32 m0, 0x100, s48                                   // 000000004180: 807C30FF 00000100
	buffer_load_dword v36, s[20:23], 0 offen lds               // 000000004188: E0511000 80050024
	s_add_u32 m0, 0, s49                                       // 000000004190: 807C3180
	s_waitcnt vmcnt(18)                                        // 000000004194: BF8C4F72
	s_barrier                                                  // 000000004198: BF8A0000
	v_mfma_i32_16x16x32_i8 v[80:83], a[16:17], a[0:1], v[80:83]// 00000000419C: D3D70050 1D420110
	v_mfma_i32_16x16x32_i8 v[80:83], a[18:19], a[2:3], v[80:83]// 0000000041A4: D3D70050 1D420512
	buffer_load_dwordx4 a[144:147], v37, s[84:87], 0 offen     // 0000000041AC: E05C1000 80959025
	v_mfma_i32_16x16x32_i8 v[80:83], a[20:21], a[4:5], v[80:83]// 0000000041B4: D3D70050 1D420914
	v_mfma_i32_16x16x32_i8 v[80:83], a[22:23], a[6:7], v[80:83]// 0000000041BC: D3D70050 1D420D16
	ds_read_b128 a[8:11], v2 offset:4352                       // 0000000041C4: DBFE1100 08000002
	ds_read_b128 a[12:15], v2 offset:4416                      // 0000000041CC: DBFE1140 0C000002
	v_mfma_i32_16x16x32_i8 v[84:87], a[24:25], a[0:1], v[84:87]// 0000000041D4: D3D70054 1D520118
	v_mfma_i32_16x16x32_i8 v[84:87], a[26:27], a[2:3], v[84:87]// 0000000041DC: D3D70054 1D52051A
	buffer_load_dwordx4 a[148:151], v37, s[84:87], 0 offen offset:1024// 0000000041E4: E05C1400 80959425
	v_mfma_i32_16x16x32_i8 v[84:87], a[28:29], a[4:5], v[84:87]// 0000000041EC: D3D70054 1D52091C
	v_mfma_i32_16x16x32_i8 v[84:87], a[30:31], a[6:7], v[84:87]// 0000000041F4: D3D70054 1D520D1E
	v_mfma_i32_16x16x32_i8 v[88:91], a[32:33], a[0:1], v[88:91]// 0000000041FC: D3D70058 1D620120
	v_mfma_i32_16x16x32_i8 v[88:91], a[34:35], a[2:3], v[88:91]// 000000004204: D3D70058 1D620522
	buffer_load_dwordx4 a[152:155], v38, s[84:87], 0 offen     // 00000000420C: E05C1000 80959826
	v_mfma_i32_16x16x32_i8 v[88:91], a[36:37], a[4:5], v[88:91]// 000000004214: D3D70058 1D620924
	v_mfma_i32_16x16x32_i8 v[88:91], a[38:39], a[6:7], v[88:91]// 00000000421C: D3D70058 1D620D26
	v_mfma_i32_16x16x32_i8 v[92:95], a[40:41], a[0:1], v[92:95]// 000000004224: D3D7005C 1D720128
	v_mfma_i32_16x16x32_i8 v[92:95], a[42:43], a[2:3], v[92:95]// 00000000422C: D3D7005C 1D72052A
	buffer_load_dwordx4 a[156:159], v38, s[84:87], 0 offen offset:1024// 000000004234: E05C1400 80959C26
	v_mfma_i32_16x16x32_i8 v[92:95], a[44:45], a[4:5], v[92:95]// 00000000423C: D3D7005C 1D72092C
	v_mfma_i32_16x16x32_i8 v[92:95], a[46:47], a[6:7], v[92:95]// 000000004244: D3D7005C 1D720D2E
	v_mfma_i32_16x16x32_i8 v[96:99], a[48:49], a[0:1], v[96:99]// 00000000424C: D3D70060 1D820130
	v_mfma_i32_16x16x32_i8 v[96:99], a[50:51], a[2:3], v[96:99]// 000000004254: D3D70060 1D820532
	buffer_load_dwordx4 a[160:163], v39, s[84:87], 0 offen     // 00000000425C: E05C1000 8095A027
	v_mfma_i32_16x16x32_i8 v[96:99], a[52:53], a[4:5], v[96:99]// 000000004264: D3D70060 1D820934
	v_mfma_i32_16x16x32_i8 v[96:99], a[54:55], a[6:7], v[96:99]// 00000000426C: D3D70060 1D820D36
	v_mfma_i32_16x16x32_i8 v[100:103], a[56:57], a[0:1], v[100:103]// 000000004274: D3D70064 1D920138
	v_mfma_i32_16x16x32_i8 v[100:103], a[58:59], a[2:3], v[100:103]// 00000000427C: D3D70064 1D92053A
	buffer_load_dwordx4 a[164:167], v39, s[84:87], 0 offen offset:1024// 000000004284: E05C1400 8095A427
	v_mfma_i32_16x16x32_i8 v[100:103], a[60:61], a[4:5], v[100:103]// 00000000428C: D3D70064 1D92093C
	v_mfma_i32_16x16x32_i8 v[100:103], a[62:63], a[6:7], v[100:103]// 000000004294: D3D70064 1D920D3E
	v_mfma_i32_16x16x32_i8 v[104:107], a[64:65], a[0:1], v[104:107]// 00000000429C: D3D70068 1DA20140
	s_add_u32 s60, 0x180, s80                                  // 0000000042A4: 803C50FF 00000180
	s_cmp_lt_u32 s60, s81                                      // 0000000042AC: BF0A513C
	s_cselect_b32 s57, s57, 0                                  // 0000000042B0: 85398039
	v_mfma_i32_16x16x32_i8 v[104:107], a[66:67], a[2:3], v[104:107]// 0000000042B4: D3D70068 1DA20542
	buffer_load_dwordx4 a[168:171], v40, s[84:87], 0 offen     // 0000000042BC: E05C1000 8095A828
	s_add_u32 s60, 0x100, s80                                  // 0000000042C4: 803C50FF 00000100
	s_cmp_lt_u32 s60, s81                                      // 0000000042CC: BF0A513C
	s_cselect_b32 s58, s58, 0                                  // 0000000042D0: 853A803A
	v_mfma_i32_16x16x32_i8 v[104:107], a[68:69], a[4:5], v[104:107]// 0000000042D4: D3D70068 1DA20944
	s_add_u32 s60, 0x100, s80                                  // 0000000042DC: 803C50FF 00000100
	s_cmp_lt_u32 s60, s81                                      // 0000000042E4: BF0A513C
	s_cselect_b32 s83, s83, 0                                  // 0000000042E8: 85538053
	v_mfma_i32_16x16x32_i8 v[104:107], a[70:71], a[6:7], v[104:107]// 0000000042EC: D3D70068 1DA20D46
	s_add_u32 s24, s58, s24                                    // 0000000042F4: 8018183A
	s_addc_u32 s25, 0, s25                                     // 0000000042F8: 82191980
	v_mfma_i32_16x16x32_i8 v[108:111], a[72:73], a[0:1], v[108:111]// 0000000042FC: D3D7006C 1DB20148
	s_add_u32 s20, s57, s20                                    // 000000004304: 80141439
	s_addc_u32 s21, 0, s21                                     // 000000004308: 82151580
	v_mfma_i32_16x16x32_i8 v[108:111], a[74:75], a[2:3], v[108:111]// 00000000430C: D3D7006C 1DB2054A
	buffer_load_dwordx4 a[172:175], v40, s[84:87], 0 offen offset:1024// 000000004314: E05C1400 8095AC28
	v_mfma_i32_16x16x32_i8 v[108:111], a[76:77], a[4:5], v[108:111]// 00000000431C: D3D7006C 1DB2094C
	v_mfma_i32_16x16x32_i8 v[108:111], a[78:79], a[6:7], v[108:111]// 000000004324: D3D7006C 1DB20D4E
	buffer_load_dwordx4 a[176:179], v41, s[84:87], 0 offen     // 00000000432C: E05C1000 8095B029
	buffer_load_dwordx4 a[180:183], v41, s[84:87], 0 offen offset:1024// 000000004334: E05C1400 8095B429
	buffer_load_dwordx4 a[184:187], v42, s[84:87], 0 offen     // 00000000433C: E05C1000 8095B82A
	buffer_load_dwordx4 a[188:191], v42, s[84:87], 0 offen offset:1024// 000000004344: E05C1400 8095BC2A
	buffer_load_dwordx4 a[192:195], v43, s[84:87], 0 offen     // 00000000434C: E05C1000 8095C02B
	buffer_load_dwordx4 a[196:199], v43, s[84:87], 0 offen offset:1024// 000000004354: E05C1400 8095C42B
	buffer_load_dwordx4 a[200:203], v44, s[84:87], 0 offen     // 00000000435C: E05C1000 8095C82C
	buffer_load_dwordx4 a[204:207], v44, s[84:87], 0 offen offset:1024// 000000004364: E05C1400 8095CC2C
	s_add_u32 s84, s83, s84                                    // 00000000436C: 80545453
	s_addc_u32 s85, 0, s85                                     // 000000004370: 82555580
	s_addk_i32 s80, 0x80                                       // 000000004374: B7500080
	s_cmp_lt_i32 s80, s81                                      // 000000004378: BF045150
	s_cbranch_scc0 label_0744                                  // 00000000437C: BF8400E4
	s_waitcnt vmcnt(18) lgkmcnt(0)                             // 000000004380: BF8C4072
	v_mfma_i32_16x16x32_i8 v[48:51], a[80:81], a[8:9], v[48:51]// 000000004384: D3D70030 1CC21150
	v_mfma_i32_16x16x32_i8 v[48:51], a[82:83], a[10:11], v[48:51]// 00000000438C: D3D70030 1CC21552
	buffer_load_dwordx4 a[16:19], v37, s[24:27], 0 offen       // 000000004394: E05C1000 80861025
	v_mfma_i32_16x16x32_i8 v[48:51], a[84:85], a[12:13], v[48:51]// 00000000439C: D3D70030 1CC21954
	v_mfma_i32_16x16x32_i8 v[48:51], a[86:87], a[14:15], v[48:51]// 0000000043A4: D3D70030 1CC21D56
	v_mfma_i32_16x16x32_i8 v[52:55], a[88:89], a[8:9], v[52:55]// 0000000043AC: D3D70034 1CD21158
	v_mfma_i32_16x16x32_i8 v[52:55], a[90:91], a[10:11], v[52:55]// 0000000043B4: D3D70034 1CD2155A
	buffer_load_dwordx4 a[20:23], v37, s[24:27], 0 offen offset:1024// 0000000043BC: E05C1400 80861425
	v_mfma_i32_16x16x32_i8 v[52:55], a[92:93], a[12:13], v[52:55]// 0000000043C4: D3D70034 1CD2195C
	v_mfma_i32_16x16x32_i8 v[52:55], a[94:95], a[14:15], v[52:55]// 0000000043CC: D3D70034 1CD21D5E
	v_mfma_i32_16x16x32_i8 v[56:59], a[96:97], a[8:9], v[56:59]// 0000000043D4: D3D70038 1CE21160
	v_mfma_i32_16x16x32_i8 v[56:59], a[98:99], a[10:11], v[56:59]// 0000000043DC: D3D70038 1CE21562
	buffer_load_dwordx4 a[24:27], v38, s[24:27], 0 offen       // 0000000043E4: E05C1000 80861826
	v_mfma_i32_16x16x32_i8 v[56:59], a[100:101], a[12:13], v[56:59]// 0000000043EC: D3D70038 1CE21964
	v_mfma_i32_16x16x32_i8 v[56:59], a[102:103], a[14:15], v[56:59]// 0000000043F4: D3D70038 1CE21D66
	v_mfma_i32_16x16x32_i8 v[60:63], a[104:105], a[8:9], v[60:63]// 0000000043FC: D3D7003C 1CF21168
	v_mfma_i32_16x16x32_i8 v[60:63], a[106:107], a[10:11], v[60:63]// 000000004404: D3D7003C 1CF2156A
	buffer_load_dwordx4 a[28:31], v38, s[24:27], 0 offen offset:1024// 00000000440C: E05C1400 80861C26
	v_mfma_i32_16x16x32_i8 v[60:63], a[108:109], a[12:13], v[60:63]// 000000004414: D3D7003C 1CF2196C
	v_mfma_i32_16x16x32_i8 v[60:63], a[110:111], a[14:15], v[60:63]// 00000000441C: D3D7003C 1CF21D6E
	v_mfma_i32_16x16x32_i8 v[64:67], a[112:113], a[8:9], v[64:67]// 000000004424: D3D70040 1D021170
	v_mfma_i32_16x16x32_i8 v[64:67], a[114:115], a[10:11], v[64:67]// 00000000442C: D3D70040 1D021572
	buffer_load_dwordx4 a[32:35], v39, s[24:27], 0 offen       // 000000004434: E05C1000 80862027
	v_mfma_i32_16x16x32_i8 v[64:67], a[116:117], a[12:13], v[64:67]// 00000000443C: D3D70040 1D021974
	v_mfma_i32_16x16x32_i8 v[64:67], a[118:119], a[14:15], v[64:67]// 000000004444: D3D70040 1D021D76
	v_mfma_i32_16x16x32_i8 v[68:71], a[120:121], a[8:9], v[68:71]// 00000000444C: D3D70044 1D121178
	v_mfma_i32_16x16x32_i8 v[68:71], a[122:123], a[10:11], v[68:71]// 000000004454: D3D70044 1D12157A
	buffer_load_dwordx4 a[36:39], v39, s[24:27], 0 offen offset:1024// 00000000445C: E05C1400 80862427
	v_mfma_i32_16x16x32_i8 v[68:71], a[124:125], a[12:13], v[68:71]// 000000004464: D3D70044 1D12197C
	v_mfma_i32_16x16x32_i8 v[68:71], a[126:127], a[14:15], v[68:71]// 00000000446C: D3D70044 1D121D7E
	v_mfma_i32_16x16x32_i8 v[72:75], a[128:129], a[8:9], v[72:75]// 000000004474: D3D70048 1D221180
	v_mfma_i32_16x16x32_i8 v[72:75], a[130:131], a[10:11], v[72:75]// 00000000447C: D3D70048 1D221582
	buffer_load_dwordx4 a[40:43], v40, s[24:27], 0 offen       // 000000004484: E05C1000 80862828
	v_mfma_i32_16x16x32_i8 v[72:75], a[132:133], a[12:13], v[72:75]// 00000000448C: D3D70048 1D221984
	v_mfma_i32_16x16x32_i8 v[72:75], a[134:135], a[14:15], v[72:75]// 000000004494: D3D70048 1D221D86
	v_mfma_i32_16x16x32_i8 v[76:79], a[136:137], a[8:9], v[76:79]// 00000000449C: D3D7004C 1D321188
	v_mfma_i32_16x16x32_i8 v[76:79], a[138:139], a[10:11], v[76:79]// 0000000044A4: D3D7004C 1D32158A
	buffer_load_dwordx4 a[44:47], v40, s[24:27], 0 offen offset:1024// 0000000044AC: E05C1400 80862C28
	v_mfma_i32_16x16x32_i8 v[76:79], a[140:141], a[12:13], v[76:79]// 0000000044B4: D3D7004C 1D32198C
	v_mfma_i32_16x16x32_i8 v[76:79], a[142:143], a[14:15], v[76:79]// 0000000044BC: D3D7004C 1D321D8E
	buffer_load_dwordx4 a[48:51], v41, s[24:27], 0 offen       // 0000000044C4: E05C1000 80863029
	buffer_load_dwordx4 a[52:55], v41, s[24:27], 0 offen offset:1024// 0000000044CC: E05C1400 80863429
	buffer_load_dwordx4 a[56:59], v42, s[24:27], 0 offen       // 0000000044D4: E05C1000 8086382A
	buffer_load_dwordx4 a[60:63], v42, s[24:27], 0 offen offset:1024// 0000000044DC: E05C1400 80863C2A
	buffer_load_dwordx4 a[64:67], v43, s[24:27], 0 offen       // 0000000044E4: E05C1000 8086402B
	buffer_load_dwordx4 a[68:71], v43, s[24:27], 0 offen offset:1024// 0000000044EC: E05C1400 8086442B
	buffer_load_dwordx4 a[72:75], v44, s[24:27], 0 offen       // 0000000044F4: E05C1000 8086482C
	buffer_load_dwordx4 a[76:79], v44, s[24:27], 0 offen offset:1024// 0000000044FC: E05C1400 80864C2C
	buffer_load_dword v35, s[20:23], 0 offen lds               // 000000004504: E0511000 80050023
	s_add_u32 m0, 0x100, s49                                   // 00000000450C: 807C31FF 00000100
	buffer_load_dword v36, s[20:23], 0 offen lds               // 000000004514: E0511000 80050024
	s_add_u32 m0, 0, s50                                       // 00000000451C: 807C3280
	s_waitcnt vmcnt(18)                                        // 000000004520: BF8C4F72
	s_barrier                                                  // 000000004524: BF8A0000
	v_mfma_i32_16x16x32_i8 v[80:83], a[144:145], a[8:9], v[80:83]// 000000004528: D3D70050 1D421190
	v_mfma_i32_16x16x32_i8 v[80:83], a[146:147], a[10:11], v[80:83]// 000000004530: D3D70050 1D421592
	buffer_load_dwordx4 a[80:83], v37, s[84:87], 0 offen       // 000000004538: E05C1000 80955025
	v_mfma_i32_16x16x32_i8 v[80:83], a[148:149], a[12:13], v[80:83]// 000000004540: D3D70050 1D421994
	v_mfma_i32_16x16x32_i8 v[80:83], a[150:151], a[14:15], v[80:83]// 000000004548: D3D70050 1D421D96
	ds_read_b128 a[0:3], v2                                    // 000000004550: DBFE0000 00000002
	ds_read_b128 a[4:7], v2 offset:64                          // 000000004558: DBFE0040 04000002
	v_mfma_i32_16x16x32_i8 v[84:87], a[152:153], a[8:9], v[84:87]// 000000004560: D3D70054 1D521198
	v_mfma_i32_16x16x32_i8 v[84:87], a[154:155], a[10:11], v[84:87]// 000000004568: D3D70054 1D52159A
	buffer_load_dwordx4 a[84:87], v37, s[84:87], 0 offen offset:1024// 000000004570: E05C1400 80955425
	v_mfma_i32_16x16x32_i8 v[84:87], a[156:157], a[12:13], v[84:87]// 000000004578: D3D70054 1D52199C
	v_mfma_i32_16x16x32_i8 v[84:87], a[158:159], a[14:15], v[84:87]// 000000004580: D3D70054 1D521D9E
	v_mfma_i32_16x16x32_i8 v[88:91], a[160:161], a[8:9], v[88:91]// 000000004588: D3D70058 1D6211A0
	v_mfma_i32_16x16x32_i8 v[88:91], a[162:163], a[10:11], v[88:91]// 000000004590: D3D70058 1D6215A2
	buffer_load_dwordx4 a[88:91], v38, s[84:87], 0 offen       // 000000004598: E05C1000 80955826
	v_mfma_i32_16x16x32_i8 v[88:91], a[164:165], a[12:13], v[88:91]// 0000000045A0: D3D70058 1D6219A4
	v_mfma_i32_16x16x32_i8 v[88:91], a[166:167], a[14:15], v[88:91]// 0000000045A8: D3D70058 1D621DA6
	v_mfma_i32_16x16x32_i8 v[92:95], a[168:169], a[8:9], v[92:95]// 0000000045B0: D3D7005C 1D7211A8
	v_mfma_i32_16x16x32_i8 v[92:95], a[170:171], a[10:11], v[92:95]// 0000000045B8: D3D7005C 1D7215AA
	buffer_load_dwordx4 a[92:95], v38, s[84:87], 0 offen offset:1024// 0000000045C0: E05C1400 80955C26
	v_mfma_i32_16x16x32_i8 v[92:95], a[172:173], a[12:13], v[92:95]// 0000000045C8: D3D7005C 1D7219AC
	v_mfma_i32_16x16x32_i8 v[92:95], a[174:175], a[14:15], v[92:95]// 0000000045D0: D3D7005C 1D721DAE
	v_mfma_i32_16x16x32_i8 v[96:99], a[176:177], a[8:9], v[96:99]// 0000000045D8: D3D70060 1D8211B0
	v_mfma_i32_16x16x32_i8 v[96:99], a[178:179], a[10:11], v[96:99]// 0000000045E0: D3D70060 1D8215B2
	buffer_load_dwordx4 a[96:99], v39, s[84:87], 0 offen       // 0000000045E8: E05C1000 80956027
	v_mfma_i32_16x16x32_i8 v[96:99], a[180:181], a[12:13], v[96:99]// 0000000045F0: D3D70060 1D8219B4
	v_mfma_i32_16x16x32_i8 v[96:99], a[182:183], a[14:15], v[96:99]// 0000000045F8: D3D70060 1D821DB6
	v_mfma_i32_16x16x32_i8 v[100:103], a[184:185], a[8:9], v[100:103]// 000000004600: D3D70064 1D9211B8
	v_mfma_i32_16x16x32_i8 v[100:103], a[186:187], a[10:11], v[100:103]// 000000004608: D3D70064 1D9215BA
	buffer_load_dwordx4 a[100:103], v39, s[84:87], 0 offen offset:1024// 000000004610: E05C1400 80956427
	v_mfma_i32_16x16x32_i8 v[100:103], a[188:189], a[12:13], v[100:103]// 000000004618: D3D70064 1D9219BC
	v_mfma_i32_16x16x32_i8 v[100:103], a[190:191], a[14:15], v[100:103]// 000000004620: D3D70064 1D921DBE
	v_mfma_i32_16x16x32_i8 v[104:107], a[192:193], a[8:9], v[104:107]// 000000004628: D3D70068 1DA211C0
	s_add_u32 s60, 0x180, s80                                  // 000000004630: 803C50FF 00000180
	s_cmp_lt_u32 s60, s81                                      // 000000004638: BF0A513C
	s_cselect_b32 s57, s57, 0                                  // 00000000463C: 85398039
	v_mfma_i32_16x16x32_i8 v[104:107], a[194:195], a[10:11], v[104:107]// 000000004640: D3D70068 1DA215C2
	buffer_load_dwordx4 a[104:107], v40, s[84:87], 0 offen     // 000000004648: E05C1000 80956828
	s_add_u32 s60, 0x100, s80                                  // 000000004650: 803C50FF 00000100
	s_cmp_lt_u32 s60, s81                                      // 000000004658: BF0A513C
	s_cselect_b32 s58, s58, 0                                  // 00000000465C: 853A803A
	v_mfma_i32_16x16x32_i8 v[104:107], a[196:197], a[12:13], v[104:107]// 000000004660: D3D70068 1DA219C4
	s_add_u32 s60, 0x100, s80                                  // 000000004668: 803C50FF 00000100
	s_cmp_lt_u32 s60, s81                                      // 000000004670: BF0A513C
	s_cselect_b32 s83, s83, 0                                  // 000000004674: 85538053
	v_mfma_i32_16x16x32_i8 v[104:107], a[198:199], a[14:15], v[104:107]// 000000004678: D3D70068 1DA21DC6
	s_add_u32 s24, s58, s24                                    // 000000004680: 8018183A
	s_addc_u32 s25, 0, s25                                     // 000000004684: 82191980
	v_mfma_i32_16x16x32_i8 v[108:111], a[200:201], a[8:9], v[108:111]// 000000004688: D3D7006C 1DB211C8
	s_add_u32 s20, s57, s20                                    // 000000004690: 80141439
	s_addc_u32 s21, 0, s21                                     // 000000004694: 82151580
	v_mfma_i32_16x16x32_i8 v[108:111], a[202:203], a[10:11], v[108:111]// 000000004698: D3D7006C 1DB215CA
	buffer_load_dwordx4 a[108:111], v40, s[84:87], 0 offen offset:1024// 0000000046A0: E05C1400 80956C28
	v_mfma_i32_16x16x32_i8 v[108:111], a[204:205], a[12:13], v[108:111]// 0000000046A8: D3D7006C 1DB219CC
	v_mfma_i32_16x16x32_i8 v[108:111], a[206:207], a[14:15], v[108:111]// 0000000046B0: D3D7006C 1DB21DCE
	buffer_load_dwordx4 a[112:115], v41, s[84:87], 0 offen     // 0000000046B8: E05C1000 80957029
	buffer_load_dwordx4 a[116:119], v41, s[84:87], 0 offen offset:1024// 0000000046C0: E05C1400 80957429
	buffer_load_dwordx4 a[120:123], v42, s[84:87], 0 offen     // 0000000046C8: E05C1000 8095782A
	buffer_load_dwordx4 a[124:127], v42, s[84:87], 0 offen offset:1024// 0000000046D0: E05C1400 80957C2A
	buffer_load_dwordx4 a[128:131], v43, s[84:87], 0 offen     // 0000000046D8: E05C1000 8095802B
	buffer_load_dwordx4 a[132:135], v43, s[84:87], 0 offen offset:1024// 0000000046E0: E05C1400 8095842B
	buffer_load_dwordx4 a[136:139], v44, s[84:87], 0 offen     // 0000000046E8: E05C1000 8095882C
	buffer_load_dwordx4 a[140:143], v44, s[84:87], 0 offen offset:1024// 0000000046F0: E05C1400 80958C2C
	s_add_u32 s84, s83, s84                                    // 0000000046F8: 80545453
	s_addc_u32 s85, 0, s85                                     // 0000000046FC: 82555580
	s_addk_i32 s80, 0x80                                       // 000000004700: B7500080
	s_cmp_lt_i32 s80, s81                                      // 000000004704: BF045150
	s_cbranch_scc0 label_0744                                  // 000000004708: BF840001
	s_branch label_01F1                                        // 00000000470C: BF82FAAD

0000000000004710 <label_0744>:
	v_cvt_f32_i32_e32 v48, v48                                 // 000000004710: 7E600B30
	v_cvt_f32_i32_e32 v49, v49                                 // 000000004714: 7E620B31
	v_cvt_f32_i32_e32 v50, v50                                 // 000000004718: 7E640B32
	v_cvt_f32_i32_e32 v51, v51                                 // 00000000471C: 7E660B33
	v_mul_f32_dpp v48, v25, v48 row_newbcast:0 row_mask:0xf bank_mask:0xf// 000000004720: 0A6060FA FF015019
	v_mul_f32_dpp v49, v25, v49 row_newbcast:1 row_mask:0xf bank_mask:0xf// 000000004728: 0A6262FA FF015119
	v_mul_f32_dpp v50, v25, v50 row_newbcast:2 row_mask:0xf bank_mask:0xf// 000000004730: 0A6464FA FF015219
	v_mul_f32_dpp v51, v25, v51 row_newbcast:3 row_mask:0xf bank_mask:0xf// 000000004738: 0A6666FA FF015319
	v_cvt_f32_i32_e32 v52, v52                                 // 000000004740: 7E680B34
	v_cvt_f32_i32_e32 v53, v53                                 // 000000004744: 7E6A0B35
	v_cvt_f32_i32_e32 v54, v54                                 // 000000004748: 7E6C0B36
	v_cvt_f32_i32_e32 v55, v55                                 // 00000000474C: 7E6E0B37
	v_mul_f32_dpp v52, v25, v52 row_newbcast:4 row_mask:0xf bank_mask:0xf// 000000004750: 0A6868FA FF015419
	v_mul_f32_dpp v53, v25, v53 row_newbcast:5 row_mask:0xf bank_mask:0xf// 000000004758: 0A6A6AFA FF015519
	v_mul_f32_dpp v54, v25, v54 row_newbcast:6 row_mask:0xf bank_mask:0xf// 000000004760: 0A6C6CFA FF015619
	v_mul_f32_dpp v55, v25, v55 row_newbcast:7 row_mask:0xf bank_mask:0xf// 000000004768: 0A6E6EFA FF015719
	v_cvt_f32_i32_e32 v56, v56                                 // 000000004770: 7E700B38
	v_cvt_f32_i32_e32 v57, v57                                 // 000000004774: 7E720B39
	v_cvt_f32_i32_e32 v58, v58                                 // 000000004778: 7E740B3A
	v_cvt_f32_i32_e32 v59, v59                                 // 00000000477C: 7E760B3B
	v_mul_f32_dpp v56, v25, v56 row_newbcast:8 row_mask:0xf bank_mask:0xf// 000000004780: 0A7070FA FF015819
	v_mul_f32_dpp v57, v25, v57 row_newbcast:9 row_mask:0xf bank_mask:0xf// 000000004788: 0A7272FA FF015919
	v_mul_f32_dpp v58, v25, v58 row_newbcast:10 row_mask:0xf bank_mask:0xf// 000000004790: 0A7474FA FF015A19
	v_mul_f32_dpp v59, v25, v59 row_newbcast:11 row_mask:0xf bank_mask:0xf// 000000004798: 0A7676FA FF015B19
	v_cvt_f32_i32_e32 v60, v60                                 // 0000000047A0: 7E780B3C
	v_cvt_f32_i32_e32 v61, v61                                 // 0000000047A4: 7E7A0B3D
	v_cvt_f32_i32_e32 v62, v62                                 // 0000000047A8: 7E7C0B3E
	v_cvt_f32_i32_e32 v63, v63                                 // 0000000047AC: 7E7E0B3F
	v_mul_f32_dpp v60, v25, v60 row_newbcast:12 row_mask:0xf bank_mask:0xf// 0000000047B0: 0A7878FA FF015C19
	v_mul_f32_dpp v61, v25, v61 row_newbcast:13 row_mask:0xf bank_mask:0xf// 0000000047B8: 0A7A7AFA FF015D19
	v_mul_f32_dpp v62, v25, v62 row_newbcast:14 row_mask:0xf bank_mask:0xf// 0000000047C0: 0A7C7CFA FF015E19
	v_mul_f32_dpp v63, v25, v63 row_newbcast:15 row_mask:0xf bank_mask:0xf// 0000000047C8: 0A7E7EFA FF015F19
	v_cvt_f32_i32_e32 v64, v64                                 // 0000000047D0: 7E800B40
	v_cvt_f32_i32_e32 v65, v65                                 // 0000000047D4: 7E820B41
	v_cvt_f32_i32_e32 v66, v66                                 // 0000000047D8: 7E840B42
	v_cvt_f32_i32_e32 v67, v67                                 // 0000000047DC: 7E860B43
	v_mul_f32_dpp v64, v26, v64 row_newbcast:0 row_mask:0xf bank_mask:0xf// 0000000047E0: 0A8080FA FF01501A
	v_mul_f32_dpp v65, v26, v65 row_newbcast:1 row_mask:0xf bank_mask:0xf// 0000000047E8: 0A8282FA FF01511A
	v_mul_f32_dpp v66, v26, v66 row_newbcast:2 row_mask:0xf bank_mask:0xf// 0000000047F0: 0A8484FA FF01521A
	v_mul_f32_dpp v67, v26, v67 row_newbcast:3 row_mask:0xf bank_mask:0xf// 0000000047F8: 0A8686FA FF01531A
	v_cvt_f32_i32_e32 v68, v68                                 // 000000004800: 7E880B44
	v_cvt_f32_i32_e32 v69, v69                                 // 000000004804: 7E8A0B45
	v_cvt_f32_i32_e32 v70, v70                                 // 000000004808: 7E8C0B46
	v_cvt_f32_i32_e32 v71, v71                                 // 00000000480C: 7E8E0B47
	v_mul_f32_dpp v68, v26, v68 row_newbcast:4 row_mask:0xf bank_mask:0xf// 000000004810: 0A8888FA FF01541A
	v_mul_f32_dpp v69, v26, v69 row_newbcast:5 row_mask:0xf bank_mask:0xf// 000000004818: 0A8A8AFA FF01551A
	v_mul_f32_dpp v70, v26, v70 row_newbcast:6 row_mask:0xf bank_mask:0xf// 000000004820: 0A8C8CFA FF01561A
	v_mul_f32_dpp v71, v26, v71 row_newbcast:7 row_mask:0xf bank_mask:0xf// 000000004828: 0A8E8EFA FF01571A
	v_cvt_f32_i32_e32 v72, v72                                 // 000000004830: 7E900B48
	v_cvt_f32_i32_e32 v73, v73                                 // 000000004834: 7E920B49
	v_cvt_f32_i32_e32 v74, v74                                 // 000000004838: 7E940B4A
	v_cvt_f32_i32_e32 v75, v75                                 // 00000000483C: 7E960B4B
	v_mul_f32_dpp v72, v26, v72 row_newbcast:8 row_mask:0xf bank_mask:0xf// 000000004840: 0A9090FA FF01581A
	v_mul_f32_dpp v73, v26, v73 row_newbcast:9 row_mask:0xf bank_mask:0xf// 000000004848: 0A9292FA FF01591A
	v_mul_f32_dpp v74, v26, v74 row_newbcast:10 row_mask:0xf bank_mask:0xf// 000000004850: 0A9494FA FF015A1A
	v_mul_f32_dpp v75, v26, v75 row_newbcast:11 row_mask:0xf bank_mask:0xf// 000000004858: 0A9696FA FF015B1A
	v_cvt_f32_i32_e32 v76, v76                                 // 000000004860: 7E980B4C
	v_cvt_f32_i32_e32 v77, v77                                 // 000000004864: 7E9A0B4D
	v_cvt_f32_i32_e32 v78, v78                                 // 000000004868: 7E9C0B4E
	v_cvt_f32_i32_e32 v79, v79                                 // 00000000486C: 7E9E0B4F
	v_mul_f32_dpp v76, v26, v76 row_newbcast:12 row_mask:0xf bank_mask:0xf// 000000004870: 0A9898FA FF015C1A
	v_mul_f32_dpp v77, v26, v77 row_newbcast:13 row_mask:0xf bank_mask:0xf// 000000004878: 0A9A9AFA FF015D1A
	v_mul_f32_dpp v78, v26, v78 row_newbcast:14 row_mask:0xf bank_mask:0xf// 000000004880: 0A9C9CFA FF015E1A
	v_mul_f32_dpp v79, v26, v79 row_newbcast:15 row_mask:0xf bank_mask:0xf// 000000004888: 0A9E9EFA FF015F1A
	v_cvt_f32_i32_e32 v80, v80                                 // 000000004890: 7EA00B50
	v_cvt_f32_i32_e32 v81, v81                                 // 000000004894: 7EA20B51
	v_cvt_f32_i32_e32 v82, v82                                 // 000000004898: 7EA40B52
	v_cvt_f32_i32_e32 v83, v83                                 // 00000000489C: 7EA60B53
	v_mul_f32_dpp v80, v28, v80 row_newbcast:0 row_mask:0xf bank_mask:0xf// 0000000048A0: 0AA0A0FA FF01501C
	v_mul_f32_dpp v81, v28, v81 row_newbcast:1 row_mask:0xf bank_mask:0xf// 0000000048A8: 0AA2A2FA FF01511C
	v_mul_f32_dpp v82, v28, v82 row_newbcast:2 row_mask:0xf bank_mask:0xf// 0000000048B0: 0AA4A4FA FF01521C
	v_mul_f32_dpp v83, v28, v83 row_newbcast:3 row_mask:0xf bank_mask:0xf// 0000000048B8: 0AA6A6FA FF01531C
	v_cvt_f32_i32_e32 v84, v84                                 // 0000000048C0: 7EA80B54
	v_cvt_f32_i32_e32 v85, v85                                 // 0000000048C4: 7EAA0B55
	v_cvt_f32_i32_e32 v86, v86                                 // 0000000048C8: 7EAC0B56
	v_cvt_f32_i32_e32 v87, v87                                 // 0000000048CC: 7EAE0B57
	v_mul_f32_dpp v84, v28, v84 row_newbcast:4 row_mask:0xf bank_mask:0xf// 0000000048D0: 0AA8A8FA FF01541C
	v_mul_f32_dpp v85, v28, v85 row_newbcast:5 row_mask:0xf bank_mask:0xf// 0000000048D8: 0AAAAAFA FF01551C
	v_mul_f32_dpp v86, v28, v86 row_newbcast:6 row_mask:0xf bank_mask:0xf// 0000000048E0: 0AACACFA FF01561C
	v_mul_f32_dpp v87, v28, v87 row_newbcast:7 row_mask:0xf bank_mask:0xf// 0000000048E8: 0AAEAEFA FF01571C
	v_cvt_f32_i32_e32 v88, v88                                 // 0000000048F0: 7EB00B58
	v_cvt_f32_i32_e32 v89, v89                                 // 0000000048F4: 7EB20B59
	v_cvt_f32_i32_e32 v90, v90                                 // 0000000048F8: 7EB40B5A
	v_cvt_f32_i32_e32 v91, v91                                 // 0000000048FC: 7EB60B5B
	v_mul_f32_dpp v88, v28, v88 row_newbcast:8 row_mask:0xf bank_mask:0xf// 000000004900: 0AB0B0FA FF01581C
	v_mul_f32_dpp v89, v28, v89 row_newbcast:9 row_mask:0xf bank_mask:0xf// 000000004908: 0AB2B2FA FF01591C
	v_mul_f32_dpp v90, v28, v90 row_newbcast:10 row_mask:0xf bank_mask:0xf// 000000004910: 0AB4B4FA FF015A1C
	v_mul_f32_dpp v91, v28, v91 row_newbcast:11 row_mask:0xf bank_mask:0xf// 000000004918: 0AB6B6FA FF015B1C
	v_cvt_f32_i32_e32 v92, v92                                 // 000000004920: 7EB80B5C
	v_cvt_f32_i32_e32 v93, v93                                 // 000000004924: 7EBA0B5D
	v_cvt_f32_i32_e32 v94, v94                                 // 000000004928: 7EBC0B5E
	v_cvt_f32_i32_e32 v95, v95                                 // 00000000492C: 7EBE0B5F
	v_mul_f32_dpp v92, v28, v92 row_newbcast:12 row_mask:0xf bank_mask:0xf// 000000004930: 0AB8B8FA FF015C1C
	v_mul_f32_dpp v93, v28, v93 row_newbcast:13 row_mask:0xf bank_mask:0xf// 000000004938: 0ABABAFA FF015D1C
	v_mul_f32_dpp v94, v28, v94 row_newbcast:14 row_mask:0xf bank_mask:0xf// 000000004940: 0ABCBCFA FF015E1C
	v_mul_f32_dpp v95, v28, v95 row_newbcast:15 row_mask:0xf bank_mask:0xf// 000000004948: 0ABEBEFA FF015F1C
	v_cvt_f32_i32_e32 v96, v96                                 // 000000004950: 7EC00B60
	v_cvt_f32_i32_e32 v97, v97                                 // 000000004954: 7EC20B61
	v_cvt_f32_i32_e32 v98, v98                                 // 000000004958: 7EC40B62
	v_cvt_f32_i32_e32 v99, v99                                 // 00000000495C: 7EC60B63
	v_mul_f32_dpp v96, v29, v96 row_newbcast:0 row_mask:0xf bank_mask:0xf// 000000004960: 0AC0C0FA FF01501D
	v_mul_f32_dpp v97, v29, v97 row_newbcast:1 row_mask:0xf bank_mask:0xf// 000000004968: 0AC2C2FA FF01511D
	v_mul_f32_dpp v98, v29, v98 row_newbcast:2 row_mask:0xf bank_mask:0xf// 000000004970: 0AC4C4FA FF01521D
	v_mul_f32_dpp v99, v29, v99 row_newbcast:3 row_mask:0xf bank_mask:0xf// 000000004978: 0AC6C6FA FF01531D
	v_cvt_f32_i32_e32 v100, v100                               // 000000004980: 7EC80B64
	v_cvt_f32_i32_e32 v101, v101                               // 000000004984: 7ECA0B65
	v_cvt_f32_i32_e32 v102, v102                               // 000000004988: 7ECC0B66
	v_cvt_f32_i32_e32 v103, v103                               // 00000000498C: 7ECE0B67
	v_mul_f32_dpp v100, v29, v100 row_newbcast:4 row_mask:0xf bank_mask:0xf// 000000004990: 0AC8C8FA FF01541D
	v_mul_f32_dpp v101, v29, v101 row_newbcast:5 row_mask:0xf bank_mask:0xf// 000000004998: 0ACACAFA FF01551D
	v_mul_f32_dpp v102, v29, v102 row_newbcast:6 row_mask:0xf bank_mask:0xf// 0000000049A0: 0ACCCCFA FF01561D
	v_mul_f32_dpp v103, v29, v103 row_newbcast:7 row_mask:0xf bank_mask:0xf// 0000000049A8: 0ACECEFA FF01571D
	v_cvt_f32_i32_e32 v104, v104                               // 0000000049B0: 7ED00B68
	v_cvt_f32_i32_e32 v105, v105                               // 0000000049B4: 7ED20B69
	v_cvt_f32_i32_e32 v106, v106                               // 0000000049B8: 7ED40B6A
	v_cvt_f32_i32_e32 v107, v107                               // 0000000049BC: 7ED60B6B
	v_mul_f32_dpp v104, v29, v104 row_newbcast:8 row_mask:0xf bank_mask:0xf// 0000000049C0: 0AD0D0FA FF01581D
	v_mul_f32_dpp v105, v29, v105 row_newbcast:9 row_mask:0xf bank_mask:0xf// 0000000049C8: 0AD2D2FA FF01591D
	v_mul_f32_dpp v106, v29, v106 row_newbcast:10 row_mask:0xf bank_mask:0xf// 0000000049D0: 0AD4D4FA FF015A1D
	v_mul_f32_dpp v107, v29, v107 row_newbcast:11 row_mask:0xf bank_mask:0xf// 0000000049D8: 0AD6D6FA FF015B1D
	v_cvt_f32_i32_e32 v108, v108                               // 0000000049E0: 7ED80B6C
	v_cvt_f32_i32_e32 v109, v109                               // 0000000049E4: 7EDA0B6D
	v_cvt_f32_i32_e32 v110, v110                               // 0000000049E8: 7EDC0B6E
	v_cvt_f32_i32_e32 v111, v111                               // 0000000049EC: 7EDE0B6F
	v_mul_f32_dpp v108, v29, v108 row_newbcast:12 row_mask:0xf bank_mask:0xf// 0000000049F0: 0AD8D8FA FF015C1D
	v_mul_f32_dpp v109, v29, v109 row_newbcast:13 row_mask:0xf bank_mask:0xf// 0000000049F8: 0ADADAFA FF015D1D
	v_mul_f32_dpp v110, v29, v110 row_newbcast:14 row_mask:0xf bank_mask:0xf// 000000004A00: 0ADCDCFA FF015E1D
	v_mul_f32_dpp v111, v29, v111 row_newbcast:15 row_mask:0xf bank_mask:0xf// 000000004A08: 0ADEDEFA FF015F1D
	v_mov_b32_e32 v4, v32                                      // 000000004A10: 7E080320
	v_mov_b32_e32 v5, v4                                       // 000000004A14: 7E0A0304
	v_pk_mul_f32 v[48:49], v[4:5], v[48:49]                    // 000000004A18: D3B14030 18026104
	v_pk_mul_f32 v[80:81], v[4:5], v[80:81]                    // 000000004A20: D3B14050 1802A104
	v_pk_mul_f32 v[50:51], v[4:5], v[50:51]                    // 000000004A28: D3B14032 18026504
	v_pk_mul_f32 v[82:83], v[4:5], v[82:83]                    // 000000004A30: D3B14052 1802A504
	v_pk_mul_f32 v[52:53], v[4:5], v[52:53]                    // 000000004A38: D3B14034 18026904
	v_pk_mul_f32 v[84:85], v[4:5], v[84:85]                    // 000000004A40: D3B14054 1802A904
	v_pk_mul_f32 v[54:55], v[4:5], v[54:55]                    // 000000004A48: D3B14036 18026D04
	v_pk_mul_f32 v[86:87], v[4:5], v[86:87]                    // 000000004A50: D3B14056 1802AD04
	v_pk_mul_f32 v[56:57], v[4:5], v[56:57]                    // 000000004A58: D3B14038 18027104
	v_pk_mul_f32 v[88:89], v[4:5], v[88:89]                    // 000000004A60: D3B14058 1802B104
	v_pk_mul_f32 v[58:59], v[4:5], v[58:59]                    // 000000004A68: D3B1403A 18027504
	v_pk_mul_f32 v[90:91], v[4:5], v[90:91]                    // 000000004A70: D3B1405A 1802B504
	v_pk_mul_f32 v[60:61], v[4:5], v[60:61]                    // 000000004A78: D3B1403C 18027904
	v_pk_mul_f32 v[92:93], v[4:5], v[92:93]                    // 000000004A80: D3B1405C 1802B904
	v_pk_mul_f32 v[62:63], v[4:5], v[62:63]                    // 000000004A88: D3B1403E 18027D04
	v_pk_mul_f32 v[94:95], v[4:5], v[94:95]                    // 000000004A90: D3B1405E 1802BD04
	v_pk_mul_f32 v[64:65], v[4:5], v[64:65]                    // 000000004A98: D3B14040 18028104
	v_pk_mul_f32 v[96:97], v[4:5], v[96:97]                    // 000000004AA0: D3B14060 1802C104
	v_pk_mul_f32 v[66:67], v[4:5], v[66:67]                    // 000000004AA8: D3B14042 18028504
	v_pk_mul_f32 v[98:99], v[4:5], v[98:99]                    // 000000004AB0: D3B14062 1802C504
	v_pk_mul_f32 v[68:69], v[4:5], v[68:69]                    // 000000004AB8: D3B14044 18028904
	v_pk_mul_f32 v[100:101], v[4:5], v[100:101]                // 000000004AC0: D3B14064 1802C904
	v_pk_mul_f32 v[70:71], v[4:5], v[70:71]                    // 000000004AC8: D3B14046 18028D04
	v_pk_mul_f32 v[102:103], v[4:5], v[102:103]                // 000000004AD0: D3B14066 1802CD04
	v_pk_mul_f32 v[72:73], v[4:5], v[72:73]                    // 000000004AD8: D3B14048 18029104
	v_pk_mul_f32 v[104:105], v[4:5], v[104:105]                // 000000004AE0: D3B14068 1802D104
	v_pk_mul_f32 v[74:75], v[4:5], v[74:75]                    // 000000004AE8: D3B1404A 18029504
	v_pk_mul_f32 v[106:107], v[4:5], v[106:107]                // 000000004AF0: D3B1406A 1802D504
	v_pk_mul_f32 v[76:77], v[4:5], v[76:77]                    // 000000004AF8: D3B1404C 18029904
	v_pk_mul_f32 v[108:109], v[4:5], v[108:109]                // 000000004B00: D3B1406C 1802D904
	v_pk_mul_f32 v[78:79], v[4:5], v[78:79]                    // 000000004B08: D3B1404E 18029D04
	v_pk_mul_f32 v[110:111], v[4:5], v[110:111]                // 000000004B10: D3B1406E 1802DD04
	s_cmp_eq_u32 s88, 0                                        // 000000004B18: BF068058
	s_cbranch_scc0 label_0C25                                  // 000000004B1C: BF8403DD
	s_cmp_eq_u32 s89, 0                                        // 000000004B20: BF068059
	s_cbranch_scc1 label_098F                                  // 000000004B24: BF850145
	v_mov_b32_e32 v8, v1                                       // 000000004B28: 7E100301
	v_mov_b32_e32 v9, v1                                       // 000000004B2C: 7E120301
	s_mov_b32 s60, s6                                          // 000000004B30: BEBC0006
	s_mov_b32 s61, s6                                          // 000000004B34: BEBD0006
	v_pk_mul_f32 v[4:5], v[48:49], v[48:49]                    // 000000004B38: D3B14004 18026130
	v_pk_mul_f32 v[6:7], v[50:51], v[50:51]                    // 000000004B40: D3B14006 18026532
	v_pk_fma_f32 v[4:5], v[4:5], s[78:79], v[8:9]              // 000000004B48: D3B04004 1C209D04
	v_pk_fma_f32 v[6:7], v[6:7], s[78:79], v[8:9]              // 000000004B50: D3B04006 1C209D06
	v_pk_mul_f32 v[4:5], v[4:5], v[48:49]                      // 000000004B58: D3B14004 18026104
	v_pk_mul_f32 v[6:7], v[6:7], v[50:51]                      // 000000004B60: D3B14006 18026506
	v_pk_mul_f32 v[4:5], v[4:5], s[60:61]                      // 000000004B68: D3B14004 18007904
	v_pk_mul_f32 v[6:7], v[6:7], s[60:61]                      // 000000004B70: D3B14006 18007906
	v_exp_f32_e32 v4, v4                                       // 000000004B78: 7E084104
	v_exp_f32_e32 v5, v5                                       // 000000004B7C: 7E0A4105
	v_exp_f32_e32 v6, v6                                       // 000000004B80: 7E0C4106
	v_exp_f32_e32 v7, v7                                       // 000000004B84: 7E0E4107
	v_add_f32_e64 v4, v4, 1.0                                  // 000000004B88: D1010004 0001E504
	v_add_f32_e64 v5, v5, 1.0                                  // 000000004B90: D1010005 0001E505
	v_add_f32_e64 v6, v6, 1.0                                  // 000000004B98: D1010006 0001E506
	v_add_f32_e64 v7, v7, 1.0                                  // 000000004BA0: D1010007 0001E507
	v_rcp_f32_e32 v4, v4                                       // 000000004BA8: 7E084504
	v_rcp_f32_e32 v5, v5                                       // 000000004BAC: 7E0A4505
	v_rcp_f32_e32 v6, v6                                       // 000000004BB0: 7E0C4506
	v_rcp_f32_e32 v7, v7                                       // 000000004BB4: 7E0E4507
	v_mul_f32_e32 v48, v48, v4                                 // 000000004BB8: 0A600930
	v_mul_f32_e32 v49, v49, v5                                 // 000000004BBC: 0A620B31
	v_mul_f32_e32 v50, v50, v6                                 // 000000004BC0: 0A640D32
	v_mul_f32_e32 v51, v51, v7                                 // 000000004BC4: 0A660F33
	v_mul_f32_e32 v48, v48, v80                                // 000000004BC8: 0A60A130
	v_mul_f32_e32 v49, v49, v81                                // 000000004BCC: 0A62A331
	v_mul_f32_e32 v50, v50, v82                                // 000000004BD0: 0A64A532
	v_mul_f32_e32 v51, v51, v83                                // 000000004BD4: 0A66A733
	v_pk_mul_f32 v[4:5], v[52:53], v[52:53]                    // 000000004BD8: D3B14004 18026934
	v_pk_mul_f32 v[6:7], v[54:55], v[54:55]                    // 000000004BE0: D3B14006 18026D36
	v_pk_fma_f32 v[4:5], v[4:5], s[78:79], v[8:9]              // 000000004BE8: D3B04004 1C209D04
	v_pk_fma_f32 v[6:7], v[6:7], s[78:79], v[8:9]              // 000000004BF0: D3B04006 1C209D06
	v_pk_mul_f32 v[4:5], v[4:5], v[52:53]                      // 000000004BF8: D3B14004 18026904
	v_pk_mul_f32 v[6:7], v[6:7], v[54:55]                      // 000000004C00: D3B14006 18026D06
	v_pk_mul_f32 v[4:5], v[4:5], s[60:61]                      // 000000004C08: D3B14004 18007904
	v_pk_mul_f32 v[6:7], v[6:7], s[60:61]                      // 000000004C10: D3B14006 18007906
	v_exp_f32_e32 v4, v4                                       // 000000004C18: 7E084104
	v_exp_f32_e32 v5, v5                                       // 000000004C1C: 7E0A4105
	v_exp_f32_e32 v6, v6                                       // 000000004C20: 7E0C4106
	v_exp_f32_e32 v7, v7                                       // 000000004C24: 7E0E4107
	v_add_f32_e64 v4, v4, 1.0                                  // 000000004C28: D1010004 0001E504
	v_add_f32_e64 v5, v5, 1.0                                  // 000000004C30: D1010005 0001E505
	v_add_f32_e64 v6, v6, 1.0                                  // 000000004C38: D1010006 0001E506
	v_add_f32_e64 v7, v7, 1.0                                  // 000000004C40: D1010007 0001E507
	v_rcp_f32_e32 v4, v4                                       // 000000004C48: 7E084504
	v_rcp_f32_e32 v5, v5                                       // 000000004C4C: 7E0A4505
	v_rcp_f32_e32 v6, v6                                       // 000000004C50: 7E0C4506
	v_rcp_f32_e32 v7, v7                                       // 000000004C54: 7E0E4507
	v_mul_f32_e32 v52, v52, v4                                 // 000000004C58: 0A680934
	v_mul_f32_e32 v53, v53, v5                                 // 000000004C5C: 0A6A0B35
	v_mul_f32_e32 v54, v54, v6                                 // 000000004C60: 0A6C0D36
	v_mul_f32_e32 v55, v55, v7                                 // 000000004C64: 0A6E0F37
	v_mul_f32_e32 v52, v52, v84                                // 000000004C68: 0A68A934
	v_mul_f32_e32 v53, v53, v85                                // 000000004C6C: 0A6AAB35
	v_mul_f32_e32 v54, v54, v86                                // 000000004C70: 0A6CAD36
	v_mul_f32_e32 v55, v55, v87                                // 000000004C74: 0A6EAF37
	v_pk_mul_f32 v[4:5], v[56:57], v[56:57]                    // 000000004C78: D3B14004 18027138
	v_pk_mul_f32 v[6:7], v[58:59], v[58:59]                    // 000000004C80: D3B14006 1802753A
	v_pk_fma_f32 v[4:5], v[4:5], s[78:79], v[8:9]              // 000000004C88: D3B04004 1C209D04
	v_pk_fma_f32 v[6:7], v[6:7], s[78:79], v[8:9]              // 000000004C90: D3B04006 1C209D06
	v_pk_mul_f32 v[4:5], v[4:5], v[56:57]                      // 000000004C98: D3B14004 18027104
	v_pk_mul_f32 v[6:7], v[6:7], v[58:59]                      // 000000004CA0: D3B14006 18027506
	v_pk_mul_f32 v[4:5], v[4:5], s[60:61]                      // 000000004CA8: D3B14004 18007904
	v_pk_mul_f32 v[6:7], v[6:7], s[60:61]                      // 000000004CB0: D3B14006 18007906
	v_exp_f32_e32 v4, v4                                       // 000000004CB8: 7E084104
	v_exp_f32_e32 v5, v5                                       // 000000004CBC: 7E0A4105
	v_exp_f32_e32 v6, v6                                       // 000000004CC0: 7E0C4106
	v_exp_f32_e32 v7, v7                                       // 000000004CC4: 7E0E4107
	v_add_f32_e64 v4, v4, 1.0                                  // 000000004CC8: D1010004 0001E504
	v_add_f32_e64 v5, v5, 1.0                                  // 000000004CD0: D1010005 0001E505
	v_add_f32_e64 v6, v6, 1.0                                  // 000000004CD8: D1010006 0001E506
	v_add_f32_e64 v7, v7, 1.0                                  // 000000004CE0: D1010007 0001E507
	v_rcp_f32_e32 v4, v4                                       // 000000004CE8: 7E084504
	v_rcp_f32_e32 v5, v5                                       // 000000004CEC: 7E0A4505
	v_rcp_f32_e32 v6, v6                                       // 000000004CF0: 7E0C4506
	v_rcp_f32_e32 v7, v7                                       // 000000004CF4: 7E0E4507
	v_mul_f32_e32 v56, v56, v4                                 // 000000004CF8: 0A700938
	v_mul_f32_e32 v57, v57, v5                                 // 000000004CFC: 0A720B39
	v_mul_f32_e32 v58, v58, v6                                 // 000000004D00: 0A740D3A
	v_mul_f32_e32 v59, v59, v7                                 // 000000004D04: 0A760F3B
	v_mul_f32_e32 v56, v56, v88                                // 000000004D08: 0A70B138
	v_mul_f32_e32 v57, v57, v89                                // 000000004D0C: 0A72B339
	v_mul_f32_e32 v58, v58, v90                                // 000000004D10: 0A74B53A
	v_mul_f32_e32 v59, v59, v91                                // 000000004D14: 0A76B73B
	v_pk_mul_f32 v[4:5], v[60:61], v[60:61]                    // 000000004D18: D3B14004 1802793C
	v_pk_mul_f32 v[6:7], v[62:63], v[62:63]                    // 000000004D20: D3B14006 18027D3E
	v_pk_fma_f32 v[4:5], v[4:5], s[78:79], v[8:9]              // 000000004D28: D3B04004 1C209D04
	v_pk_fma_f32 v[6:7], v[6:7], s[78:79], v[8:9]              // 000000004D30: D3B04006 1C209D06
	v_pk_mul_f32 v[4:5], v[4:5], v[60:61]                      // 000000004D38: D3B14004 18027904
	v_pk_mul_f32 v[6:7], v[6:7], v[62:63]                      // 000000004D40: D3B14006 18027D06
	v_pk_mul_f32 v[4:5], v[4:5], s[60:61]                      // 000000004D48: D3B14004 18007904
	v_pk_mul_f32 v[6:7], v[6:7], s[60:61]                      // 000000004D50: D3B14006 18007906
	v_exp_f32_e32 v4, v4                                       // 000000004D58: 7E084104
	v_exp_f32_e32 v5, v5                                       // 000000004D5C: 7E0A4105
	v_exp_f32_e32 v6, v6                                       // 000000004D60: 7E0C4106
	v_exp_f32_e32 v7, v7                                       // 000000004D64: 7E0E4107
	v_add_f32_e64 v4, v4, 1.0                                  // 000000004D68: D1010004 0001E504
	v_add_f32_e64 v5, v5, 1.0                                  // 000000004D70: D1010005 0001E505
	v_add_f32_e64 v6, v6, 1.0                                  // 000000004D78: D1010006 0001E506
	v_add_f32_e64 v7, v7, 1.0                                  // 000000004D80: D1010007 0001E507
	v_rcp_f32_e32 v4, v4                                       // 000000004D88: 7E084504
	v_rcp_f32_e32 v5, v5                                       // 000000004D8C: 7E0A4505
	v_rcp_f32_e32 v6, v6                                       // 000000004D90: 7E0C4506
	v_rcp_f32_e32 v7, v7                                       // 000000004D94: 7E0E4507
	v_mul_f32_e32 v60, v60, v4                                 // 000000004D98: 0A78093C
	v_mul_f32_e32 v61, v61, v5                                 // 000000004D9C: 0A7A0B3D
	v_mul_f32_e32 v62, v62, v6                                 // 000000004DA0: 0A7C0D3E
	v_mul_f32_e32 v63, v63, v7                                 // 000000004DA4: 0A7E0F3F
	v_mul_f32_e32 v60, v60, v92                                // 000000004DA8: 0A78B93C
	v_mul_f32_e32 v61, v61, v93                                // 000000004DAC: 0A7ABB3D
	v_mul_f32_e32 v62, v62, v94                                // 000000004DB0: 0A7CBD3E
	v_mul_f32_e32 v63, v63, v95                                // 000000004DB4: 0A7EBF3F
	v_pk_mul_f32 v[4:5], v[64:65], v[64:65]                    // 000000004DB8: D3B14004 18028140
	v_pk_mul_f32 v[6:7], v[66:67], v[66:67]                    // 000000004DC0: D3B14006 18028542
	v_pk_fma_f32 v[4:5], v[4:5], s[78:79], v[8:9]              // 000000004DC8: D3B04004 1C209D04
	v_pk_fma_f32 v[6:7], v[6:7], s[78:79], v[8:9]              // 000000004DD0: D3B04006 1C209D06
	v_pk_mul_f32 v[4:5], v[4:5], v[64:65]                      // 000000004DD8: D3B14004 18028104
	v_pk_mul_f32 v[6:7], v[6:7], v[66:67]                      // 000000004DE0: D3B14006 18028506
	v_pk_mul_f32 v[4:5], v[4:5], s[60:61]                      // 000000004DE8: D3B14004 18007904
	v_pk_mul_f32 v[6:7], v[6:7], s[60:61]                      // 000000004DF0: D3B14006 18007906
	v_exp_f32_e32 v4, v4                                       // 000000004DF8: 7E084104
	v_exp_f32_e32 v5, v5                                       // 000000004DFC: 7E0A4105
	v_exp_f32_e32 v6, v6                                       // 000000004E00: 7E0C4106
	v_exp_f32_e32 v7, v7                                       // 000000004E04: 7E0E4107
	v_add_f32_e64 v4, v4, 1.0                                  // 000000004E08: D1010004 0001E504
	v_add_f32_e64 v5, v5, 1.0                                  // 000000004E10: D1010005 0001E505
	v_add_f32_e64 v6, v6, 1.0                                  // 000000004E18: D1010006 0001E506
	v_add_f32_e64 v7, v7, 1.0                                  // 000000004E20: D1010007 0001E507
	v_rcp_f32_e32 v4, v4                                       // 000000004E28: 7E084504
	v_rcp_f32_e32 v5, v5                                       // 000000004E2C: 7E0A4505
	v_rcp_f32_e32 v6, v6                                       // 000000004E30: 7E0C4506
	v_rcp_f32_e32 v7, v7                                       // 000000004E34: 7E0E4507
	v_mul_f32_e32 v64, v64, v4                                 // 000000004E38: 0A800940
	v_mul_f32_e32 v65, v65, v5                                 // 000000004E3C: 0A820B41
	v_mul_f32_e32 v66, v66, v6                                 // 000000004E40: 0A840D42
	v_mul_f32_e32 v67, v67, v7                                 // 000000004E44: 0A860F43
	v_mul_f32_e32 v64, v64, v96                                // 000000004E48: 0A80C140
	v_mul_f32_e32 v65, v65, v97                                // 000000004E4C: 0A82C341
	v_mul_f32_e32 v66, v66, v98                                // 000000004E50: 0A84C542
	v_mul_f32_e32 v67, v67, v99                                // 000000004E54: 0A86C743
	v_pk_mul_f32 v[4:5], v[68:69], v[68:69]                    // 000000004E58: D3B14004 18028944
	v_pk_mul_f32 v[6:7], v[70:71], v[70:71]                    // 000000004E60: D3B14006 18028D46
	v_pk_fma_f32 v[4:5], v[4:5], s[78:79], v[8:9]              // 000000004E68: D3B04004 1C209D04
	v_pk_fma_f32 v[6:7], v[6:7], s[78:79], v[8:9]              // 000000004E70: D3B04006 1C209D06
	v_pk_mul_f32 v[4:5], v[4:5], v[68:69]                      // 000000004E78: D3B14004 18028904
	v_pk_mul_f32 v[6:7], v[6:7], v[70:71]                      // 000000004E80: D3B14006 18028D06
	v_pk_mul_f32 v[4:5], v[4:5], s[60:61]                      // 000000004E88: D3B14004 18007904
	v_pk_mul_f32 v[6:7], v[6:7], s[60:61]                      // 000000004E90: D3B14006 18007906
	v_exp_f32_e32 v4, v4                                       // 000000004E98: 7E084104
	v_exp_f32_e32 v5, v5                                       // 000000004E9C: 7E0A4105
	v_exp_f32_e32 v6, v6                                       // 000000004EA0: 7E0C4106
	v_exp_f32_e32 v7, v7                                       // 000000004EA4: 7E0E4107
	v_add_f32_e64 v4, v4, 1.0                                  // 000000004EA8: D1010004 0001E504
	v_add_f32_e64 v5, v5, 1.0                                  // 000000004EB0: D1010005 0001E505
	v_add_f32_e64 v6, v6, 1.0                                  // 000000004EB8: D1010006 0001E506
	v_add_f32_e64 v7, v7, 1.0                                  // 000000004EC0: D1010007 0001E507
	v_rcp_f32_e32 v4, v4                                       // 000000004EC8: 7E084504
	v_rcp_f32_e32 v5, v5                                       // 000000004ECC: 7E0A4505
	v_rcp_f32_e32 v6, v6                                       // 000000004ED0: 7E0C4506
	v_rcp_f32_e32 v7, v7                                       // 000000004ED4: 7E0E4507
	v_mul_f32_e32 v68, v68, v4                                 // 000000004ED8: 0A880944
	v_mul_f32_e32 v69, v69, v5                                 // 000000004EDC: 0A8A0B45
	v_mul_f32_e32 v70, v70, v6                                 // 000000004EE0: 0A8C0D46
	v_mul_f32_e32 v71, v71, v7                                 // 000000004EE4: 0A8E0F47
	v_mul_f32_e32 v68, v68, v100                               // 000000004EE8: 0A88C944
	v_mul_f32_e32 v69, v69, v101                               // 000000004EEC: 0A8ACB45
	v_mul_f32_e32 v70, v70, v102                               // 000000004EF0: 0A8CCD46
	v_mul_f32_e32 v71, v71, v103                               // 000000004EF4: 0A8ECF47
	v_pk_mul_f32 v[4:5], v[72:73], v[72:73]                    // 000000004EF8: D3B14004 18029148
	v_pk_mul_f32 v[6:7], v[74:75], v[74:75]                    // 000000004F00: D3B14006 1802954A
	v_pk_fma_f32 v[4:5], v[4:5], s[78:79], v[8:9]              // 000000004F08: D3B04004 1C209D04
	v_pk_fma_f32 v[6:7], v[6:7], s[78:79], v[8:9]              // 000000004F10: D3B04006 1C209D06
	v_pk_mul_f32 v[4:5], v[4:5], v[72:73]                      // 000000004F18: D3B14004 18029104
	v_pk_mul_f32 v[6:7], v[6:7], v[74:75]                      // 000000004F20: D3B14006 18029506
	v_pk_mul_f32 v[4:5], v[4:5], s[60:61]                      // 000000004F28: D3B14004 18007904
	v_pk_mul_f32 v[6:7], v[6:7], s[60:61]                      // 000000004F30: D3B14006 18007906
	v_exp_f32_e32 v4, v4                                       // 000000004F38: 7E084104
	v_exp_f32_e32 v5, v5                                       // 000000004F3C: 7E0A4105
	v_exp_f32_e32 v6, v6                                       // 000000004F40: 7E0C4106
	v_exp_f32_e32 v7, v7                                       // 000000004F44: 7E0E4107
	v_add_f32_e64 v4, v4, 1.0                                  // 000000004F48: D1010004 0001E504
	v_add_f32_e64 v5, v5, 1.0                                  // 000000004F50: D1010005 0001E505
	v_add_f32_e64 v6, v6, 1.0                                  // 000000004F58: D1010006 0001E506
	v_add_f32_e64 v7, v7, 1.0                                  // 000000004F60: D1010007 0001E507
	v_rcp_f32_e32 v4, v4                                       // 000000004F68: 7E084504
	v_rcp_f32_e32 v5, v5                                       // 000000004F6C: 7E0A4505
	v_rcp_f32_e32 v6, v6                                       // 000000004F70: 7E0C4506
	v_rcp_f32_e32 v7, v7                                       // 000000004F74: 7E0E4507
	v_mul_f32_e32 v72, v72, v4                                 // 000000004F78: 0A900948
	v_mul_f32_e32 v73, v73, v5                                 // 000000004F7C: 0A920B49
	v_mul_f32_e32 v74, v74, v6                                 // 000000004F80: 0A940D4A
	v_mul_f32_e32 v75, v75, v7                                 // 000000004F84: 0A960F4B
	v_mul_f32_e32 v72, v72, v104                               // 000000004F88: 0A90D148
	v_mul_f32_e32 v73, v73, v105                               // 000000004F8C: 0A92D349
	v_mul_f32_e32 v74, v74, v106                               // 000000004F90: 0A94D54A
	v_mul_f32_e32 v75, v75, v107                               // 000000004F94: 0A96D74B
	v_pk_mul_f32 v[4:5], v[76:77], v[76:77]                    // 000000004F98: D3B14004 1802994C
	v_pk_mul_f32 v[6:7], v[78:79], v[78:79]                    // 000000004FA0: D3B14006 18029D4E
	v_pk_fma_f32 v[4:5], v[4:5], s[78:79], v[8:9]              // 000000004FA8: D3B04004 1C209D04
	v_pk_fma_f32 v[6:7], v[6:7], s[78:79], v[8:9]              // 000000004FB0: D3B04006 1C209D06
	v_pk_mul_f32 v[4:5], v[4:5], v[76:77]                      // 000000004FB8: D3B14004 18029904
	v_pk_mul_f32 v[6:7], v[6:7], v[78:79]                      // 000000004FC0: D3B14006 18029D06
	v_pk_mul_f32 v[4:5], v[4:5], s[60:61]                      // 000000004FC8: D3B14004 18007904
	v_pk_mul_f32 v[6:7], v[6:7], s[60:61]                      // 000000004FD0: D3B14006 18007906
	v_exp_f32_e32 v4, v4                                       // 000000004FD8: 7E084104
	v_exp_f32_e32 v5, v5                                       // 000000004FDC: 7E0A4105
	v_exp_f32_e32 v6, v6                                       // 000000004FE0: 7E0C4106
	v_exp_f32_e32 v7, v7                                       // 000000004FE4: 7E0E4107
	v_add_f32_e64 v4, v4, 1.0                                  // 000000004FE8: D1010004 0001E504
	v_add_f32_e64 v5, v5, 1.0                                  // 000000004FF0: D1010005 0001E505
	v_add_f32_e64 v6, v6, 1.0                                  // 000000004FF8: D1010006 0001E506
	v_add_f32_e64 v7, v7, 1.0                                  // 000000005000: D1010007 0001E507
	v_rcp_f32_e32 v4, v4                                       // 000000005008: 7E084504
	v_rcp_f32_e32 v5, v5                                       // 00000000500C: 7E0A4505
	v_rcp_f32_e32 v6, v6                                       // 000000005010: 7E0C4506
	v_rcp_f32_e32 v7, v7                                       // 000000005014: 7E0E4507
	v_mul_f32_e32 v76, v76, v4                                 // 000000005018: 0A98094C
	v_mul_f32_e32 v77, v77, v5                                 // 00000000501C: 0A9A0B4D
	v_mul_f32_e32 v78, v78, v6                                 // 000000005020: 0A9C0D4E
	v_mul_f32_e32 v79, v79, v7                                 // 000000005024: 0A9E0F4F
	v_mul_f32_e32 v76, v76, v108                               // 000000005028: 0A98D94C
	v_mul_f32_e32 v77, v77, v109                               // 00000000502C: 0A9ADB4D
	v_mul_f32_e32 v78, v78, v110                               // 000000005030: 0A9CDD4E
	v_mul_f32_e32 v79, v79, v111                               // 000000005034: 0A9EDF4F
	s_branch label_0A8F                                        // 000000005038: BF820100

000000000000503c <label_098F>:
	v_mul_f32_e64 v4, -v48, s6                                 // 00000000503C: D1050004 20000D30
	v_mul_f32_e64 v5, -v49, s6                                 // 000000005044: D1050005 20000D31
	v_mul_f32_e64 v6, -v50, s6                                 // 00000000504C: D1050006 20000D32
	v_mul_f32_e64 v7, -v51, s6                                 // 000000005054: D1050007 20000D33
	v_exp_f32_e32 v4, v4                                       // 00000000505C: 7E084104
	v_exp_f32_e32 v5, v5                                       // 000000005060: 7E0A4105
	v_exp_f32_e32 v6, v6                                       // 000000005064: 7E0C4106
	v_exp_f32_e32 v7, v7                                       // 000000005068: 7E0E4107
	v_add_f32_e64 v4, v4, 1.0                                  // 00000000506C: D1010004 0001E504
	v_add_f32_e64 v5, v5, 1.0                                  // 000000005074: D1010005 0001E505
	v_add_f32_e64 v6, v6, 1.0                                  // 00000000507C: D1010006 0001E506
	v_add_f32_e64 v7, v7, 1.0                                  // 000000005084: D1010007 0001E507
	v_rcp_f32_e32 v4, v4                                       // 00000000508C: 7E084504
	v_rcp_f32_e32 v5, v5                                       // 000000005090: 7E0A4505
	v_rcp_f32_e32 v6, v6                                       // 000000005094: 7E0C4506
	v_rcp_f32_e32 v7, v7                                       // 000000005098: 7E0E4507
	v_mul_f32_e32 v48, v48, v4                                 // 00000000509C: 0A600930
	v_mul_f32_e32 v49, v49, v5                                 // 0000000050A0: 0A620B31
	v_mul_f32_e32 v50, v50, v6                                 // 0000000050A4: 0A640D32
	v_mul_f32_e32 v51, v51, v7                                 // 0000000050A8: 0A660F33
	v_mul_f32_e32 v48, v48, v80                                // 0000000050AC: 0A60A130
	v_mul_f32_e32 v49, v49, v81                                // 0000000050B0: 0A62A331
	v_mul_f32_e32 v50, v50, v82                                // 0000000050B4: 0A64A532
	v_mul_f32_e32 v51, v51, v83                                // 0000000050B8: 0A66A733
	v_mul_f32_e64 v4, -v52, s6                                 // 0000000050BC: D1050004 20000D34
	v_mul_f32_e64 v5, -v53, s6                                 // 0000000050C4: D1050005 20000D35
	v_mul_f32_e64 v6, -v54, s6                                 // 0000000050CC: D1050006 20000D36
	v_mul_f32_e64 v7, -v55, s6                                 // 0000000050D4: D1050007 20000D37
	v_exp_f32_e32 v4, v4                                       // 0000000050DC: 7E084104
	v_exp_f32_e32 v5, v5                                       // 0000000050E0: 7E0A4105
	v_exp_f32_e32 v6, v6                                       // 0000000050E4: 7E0C4106
	v_exp_f32_e32 v7, v7                                       // 0000000050E8: 7E0E4107
	v_add_f32_e64 v4, v4, 1.0                                  // 0000000050EC: D1010004 0001E504
	v_add_f32_e64 v5, v5, 1.0                                  // 0000000050F4: D1010005 0001E505
	v_add_f32_e64 v6, v6, 1.0                                  // 0000000050FC: D1010006 0001E506
	v_add_f32_e64 v7, v7, 1.0                                  // 000000005104: D1010007 0001E507
	v_rcp_f32_e32 v4, v4                                       // 00000000510C: 7E084504
	v_rcp_f32_e32 v5, v5                                       // 000000005110: 7E0A4505
	v_rcp_f32_e32 v6, v6                                       // 000000005114: 7E0C4506
	v_rcp_f32_e32 v7, v7                                       // 000000005118: 7E0E4507
	v_mul_f32_e32 v52, v52, v4                                 // 00000000511C: 0A680934
	v_mul_f32_e32 v53, v53, v5                                 // 000000005120: 0A6A0B35
	v_mul_f32_e32 v54, v54, v6                                 // 000000005124: 0A6C0D36
	v_mul_f32_e32 v55, v55, v7                                 // 000000005128: 0A6E0F37
	v_mul_f32_e32 v52, v52, v84                                // 00000000512C: 0A68A934
	v_mul_f32_e32 v53, v53, v85                                // 000000005130: 0A6AAB35
	v_mul_f32_e32 v54, v54, v86                                // 000000005134: 0A6CAD36
	v_mul_f32_e32 v55, v55, v87                                // 000000005138: 0A6EAF37
	v_mul_f32_e64 v4, -v56, s6                                 // 00000000513C: D1050004 20000D38
	v_mul_f32_e64 v5, -v57, s6                                 // 000000005144: D1050005 20000D39
	v_mul_f32_e64 v6, -v58, s6                                 // 00000000514C: D1050006 20000D3A
	v_mul_f32_e64 v7, -v59, s6                                 // 000000005154: D1050007 20000D3B
	v_exp_f32_e32 v4, v4                                       // 00000000515C: 7E084104
	v_exp_f32_e32 v5, v5                                       // 000000005160: 7E0A4105
	v_exp_f32_e32 v6, v6                                       // 000000005164: 7E0C4106
	v_exp_f32_e32 v7, v7                                       // 000000005168: 7E0E4107
	v_add_f32_e64 v4, v4, 1.0                                  // 00000000516C: D1010004 0001E504
	v_add_f32_e64 v5, v5, 1.0                                  // 000000005174: D1010005 0001E505
	v_add_f32_e64 v6, v6, 1.0                                  // 00000000517C: D1010006 0001E506
	v_add_f32_e64 v7, v7, 1.0                                  // 000000005184: D1010007 0001E507
	v_rcp_f32_e32 v4, v4                                       // 00000000518C: 7E084504
	v_rcp_f32_e32 v5, v5                                       // 000000005190: 7E0A4505
	v_rcp_f32_e32 v6, v6                                       // 000000005194: 7E0C4506
	v_rcp_f32_e32 v7, v7                                       // 000000005198: 7E0E4507
	v_mul_f32_e32 v56, v56, v4                                 // 00000000519C: 0A700938
	v_mul_f32_e32 v57, v57, v5                                 // 0000000051A0: 0A720B39
	v_mul_f32_e32 v58, v58, v6                                 // 0000000051A4: 0A740D3A
	v_mul_f32_e32 v59, v59, v7                                 // 0000000051A8: 0A760F3B
	v_mul_f32_e32 v56, v56, v88                                // 0000000051AC: 0A70B138
	v_mul_f32_e32 v57, v57, v89                                // 0000000051B0: 0A72B339
	v_mul_f32_e32 v58, v58, v90                                // 0000000051B4: 0A74B53A
	v_mul_f32_e32 v59, v59, v91                                // 0000000051B8: 0A76B73B
	v_mul_f32_e64 v4, -v60, s6                                 // 0000000051BC: D1050004 20000D3C
	v_mul_f32_e64 v5, -v61, s6                                 // 0000000051C4: D1050005 20000D3D
	v_mul_f32_e64 v6, -v62, s6                                 // 0000000051CC: D1050006 20000D3E
	v_mul_f32_e64 v7, -v63, s6                                 // 0000000051D4: D1050007 20000D3F
	v_exp_f32_e32 v4, v4                                       // 0000000051DC: 7E084104
	v_exp_f32_e32 v5, v5                                       // 0000000051E0: 7E0A4105
	v_exp_f32_e32 v6, v6                                       // 0000000051E4: 7E0C4106
	v_exp_f32_e32 v7, v7                                       // 0000000051E8: 7E0E4107
	v_add_f32_e64 v4, v4, 1.0                                  // 0000000051EC: D1010004 0001E504
	v_add_f32_e64 v5, v5, 1.0                                  // 0000000051F4: D1010005 0001E505
	v_add_f32_e64 v6, v6, 1.0                                  // 0000000051FC: D1010006 0001E506
	v_add_f32_e64 v7, v7, 1.0                                  // 000000005204: D1010007 0001E507
	v_rcp_f32_e32 v4, v4                                       // 00000000520C: 7E084504
	v_rcp_f32_e32 v5, v5                                       // 000000005210: 7E0A4505
	v_rcp_f32_e32 v6, v6                                       // 000000005214: 7E0C4506
	v_rcp_f32_e32 v7, v7                                       // 000000005218: 7E0E4507
	v_mul_f32_e32 v60, v60, v4                                 // 00000000521C: 0A78093C
	v_mul_f32_e32 v61, v61, v5                                 // 000000005220: 0A7A0B3D
	v_mul_f32_e32 v62, v62, v6                                 // 000000005224: 0A7C0D3E
	v_mul_f32_e32 v63, v63, v7                                 // 000000005228: 0A7E0F3F
	v_mul_f32_e32 v60, v60, v92                                // 00000000522C: 0A78B93C
	v_mul_f32_e32 v61, v61, v93                                // 000000005230: 0A7ABB3D
	v_mul_f32_e32 v62, v62, v94                                // 000000005234: 0A7CBD3E
	v_mul_f32_e32 v63, v63, v95                                // 000000005238: 0A7EBF3F
	v_mul_f32_e64 v4, -v64, s6                                 // 00000000523C: D1050004 20000D40
	v_mul_f32_e64 v5, -v65, s6                                 // 000000005244: D1050005 20000D41
	v_mul_f32_e64 v6, -v66, s6                                 // 00000000524C: D1050006 20000D42
	v_mul_f32_e64 v7, -v67, s6                                 // 000000005254: D1050007 20000D43
	v_exp_f32_e32 v4, v4                                       // 00000000525C: 7E084104
	v_exp_f32_e32 v5, v5                                       // 000000005260: 7E0A4105
	v_exp_f32_e32 v6, v6                                       // 000000005264: 7E0C4106
	v_exp_f32_e32 v7, v7                                       // 000000005268: 7E0E4107
	v_add_f32_e64 v4, v4, 1.0                                  // 00000000526C: D1010004 0001E504
	v_add_f32_e64 v5, v5, 1.0                                  // 000000005274: D1010005 0001E505
	v_add_f32_e64 v6, v6, 1.0                                  // 00000000527C: D1010006 0001E506
	v_add_f32_e64 v7, v7, 1.0                                  // 000000005284: D1010007 0001E507
	v_rcp_f32_e32 v4, v4                                       // 00000000528C: 7E084504
	v_rcp_f32_e32 v5, v5                                       // 000000005290: 7E0A4505
	v_rcp_f32_e32 v6, v6                                       // 000000005294: 7E0C4506
	v_rcp_f32_e32 v7, v7                                       // 000000005298: 7E0E4507
	v_mul_f32_e32 v64, v64, v4                                 // 00000000529C: 0A800940
	v_mul_f32_e32 v65, v65, v5                                 // 0000000052A0: 0A820B41
	v_mul_f32_e32 v66, v66, v6                                 // 0000000052A4: 0A840D42
	v_mul_f32_e32 v67, v67, v7                                 // 0000000052A8: 0A860F43
	v_mul_f32_e32 v64, v64, v96                                // 0000000052AC: 0A80C140
	v_mul_f32_e32 v65, v65, v97                                // 0000000052B0: 0A82C341
	v_mul_f32_e32 v66, v66, v98                                // 0000000052B4: 0A84C542
	v_mul_f32_e32 v67, v67, v99                                // 0000000052B8: 0A86C743
	v_mul_f32_e64 v4, -v68, s6                                 // 0000000052BC: D1050004 20000D44
	v_mul_f32_e64 v5, -v69, s6                                 // 0000000052C4: D1050005 20000D45
	v_mul_f32_e64 v6, -v70, s6                                 // 0000000052CC: D1050006 20000D46
	v_mul_f32_e64 v7, -v71, s6                                 // 0000000052D4: D1050007 20000D47
	v_exp_f32_e32 v4, v4                                       // 0000000052DC: 7E084104
	v_exp_f32_e32 v5, v5                                       // 0000000052E0: 7E0A4105
	v_exp_f32_e32 v6, v6                                       // 0000000052E4: 7E0C4106
	v_exp_f32_e32 v7, v7                                       // 0000000052E8: 7E0E4107
	v_add_f32_e64 v4, v4, 1.0                                  // 0000000052EC: D1010004 0001E504
	v_add_f32_e64 v5, v5, 1.0                                  // 0000000052F4: D1010005 0001E505
	v_add_f32_e64 v6, v6, 1.0                                  // 0000000052FC: D1010006 0001E506
	v_add_f32_e64 v7, v7, 1.0                                  // 000000005304: D1010007 0001E507
	v_rcp_f32_e32 v4, v4                                       // 00000000530C: 7E084504
	v_rcp_f32_e32 v5, v5                                       // 000000005310: 7E0A4505
	v_rcp_f32_e32 v6, v6                                       // 000000005314: 7E0C4506
	v_rcp_f32_e32 v7, v7                                       // 000000005318: 7E0E4507
	v_mul_f32_e32 v68, v68, v4                                 // 00000000531C: 0A880944
	v_mul_f32_e32 v69, v69, v5                                 // 000000005320: 0A8A0B45
	v_mul_f32_e32 v70, v70, v6                                 // 000000005324: 0A8C0D46
	v_mul_f32_e32 v71, v71, v7                                 // 000000005328: 0A8E0F47
	v_mul_f32_e32 v68, v68, v100                               // 00000000532C: 0A88C944
	v_mul_f32_e32 v69, v69, v101                               // 000000005330: 0A8ACB45
	v_mul_f32_e32 v70, v70, v102                               // 000000005334: 0A8CCD46
	v_mul_f32_e32 v71, v71, v103                               // 000000005338: 0A8ECF47
	v_mul_f32_e64 v4, -v72, s6                                 // 00000000533C: D1050004 20000D48
	v_mul_f32_e64 v5, -v73, s6                                 // 000000005344: D1050005 20000D49
	v_mul_f32_e64 v6, -v74, s6                                 // 00000000534C: D1050006 20000D4A
	v_mul_f32_e64 v7, -v75, s6                                 // 000000005354: D1050007 20000D4B
	v_exp_f32_e32 v4, v4                                       // 00000000535C: 7E084104
	v_exp_f32_e32 v5, v5                                       // 000000005360: 7E0A4105
	v_exp_f32_e32 v6, v6                                       // 000000005364: 7E0C4106
	v_exp_f32_e32 v7, v7                                       // 000000005368: 7E0E4107
	v_add_f32_e64 v4, v4, 1.0                                  // 00000000536C: D1010004 0001E504
	v_add_f32_e64 v5, v5, 1.0                                  // 000000005374: D1010005 0001E505
	v_add_f32_e64 v6, v6, 1.0                                  // 00000000537C: D1010006 0001E506
	v_add_f32_e64 v7, v7, 1.0                                  // 000000005384: D1010007 0001E507
	v_rcp_f32_e32 v4, v4                                       // 00000000538C: 7E084504
	v_rcp_f32_e32 v5, v5                                       // 000000005390: 7E0A4505
	v_rcp_f32_e32 v6, v6                                       // 000000005394: 7E0C4506
	v_rcp_f32_e32 v7, v7                                       // 000000005398: 7E0E4507
	v_mul_f32_e32 v72, v72, v4                                 // 00000000539C: 0A900948
	v_mul_f32_e32 v73, v73, v5                                 // 0000000053A0: 0A920B49
	v_mul_f32_e32 v74, v74, v6                                 // 0000000053A4: 0A940D4A
	v_mul_f32_e32 v75, v75, v7                                 // 0000000053A8: 0A960F4B
	v_mul_f32_e32 v72, v72, v104                               // 0000000053AC: 0A90D148
	v_mul_f32_e32 v73, v73, v105                               // 0000000053B0: 0A92D349
	v_mul_f32_e32 v74, v74, v106                               // 0000000053B4: 0A94D54A
	v_mul_f32_e32 v75, v75, v107                               // 0000000053B8: 0A96D74B
	v_mul_f32_e64 v4, -v76, s6                                 // 0000000053BC: D1050004 20000D4C
	v_mul_f32_e64 v5, -v77, s6                                 // 0000000053C4: D1050005 20000D4D
	v_mul_f32_e64 v6, -v78, s6                                 // 0000000053CC: D1050006 20000D4E
	v_mul_f32_e64 v7, -v79, s6                                 // 0000000053D4: D1050007 20000D4F
	v_exp_f32_e32 v4, v4                                       // 0000000053DC: 7E084104
	v_exp_f32_e32 v5, v5                                       // 0000000053E0: 7E0A4105
	v_exp_f32_e32 v6, v6                                       // 0000000053E4: 7E0C4106
	v_exp_f32_e32 v7, v7                                       // 0000000053E8: 7E0E4107
	v_add_f32_e64 v4, v4, 1.0                                  // 0000000053EC: D1010004 0001E504
	v_add_f32_e64 v5, v5, 1.0                                  // 0000000053F4: D1010005 0001E505
	v_add_f32_e64 v6, v6, 1.0                                  // 0000000053FC: D1010006 0001E506
	v_add_f32_e64 v7, v7, 1.0                                  // 000000005404: D1010007 0001E507
	v_rcp_f32_e32 v4, v4                                       // 00000000540C: 7E084504
	v_rcp_f32_e32 v5, v5                                       // 000000005410: 7E0A4505
	v_rcp_f32_e32 v6, v6                                       // 000000005414: 7E0C4506
	v_rcp_f32_e32 v7, v7                                       // 000000005418: 7E0E4507
	v_mul_f32_e32 v76, v76, v4                                 // 00000000541C: 0A98094C
	v_mul_f32_e32 v77, v77, v5                                 // 000000005420: 0A9A0B4D
	v_mul_f32_e32 v78, v78, v6                                 // 000000005424: 0A9C0D4E
	v_mul_f32_e32 v79, v79, v7                                 // 000000005428: 0A9E0F4F
	v_mul_f32_e32 v76, v76, v108                               // 00000000542C: 0A98D94C
	v_mul_f32_e32 v77, v77, v109                               // 000000005430: 0A9ADB4D
	v_mul_f32_e32 v78, v78, v110                               // 000000005434: 0A9CDD4E
	v_mul_f32_e32 v79, v79, v111                               // 000000005438: 0A9EDF4F

000000000000543c <label_0A8F>:
	v_cmp_u_f32_e64 s[46:47], v48, v48                         // 00000000543C: D048002E 00026130
	v_add3_u32 v16, v48, v19, 1                                // 000000005444: D1FF0010 02062730
	v_cndmask_b32_e64 v4, v16, v18, s[46:47]                   // 00000000544C: D1000004 00BA2510
	v_cmp_u_f32_e64 s[46:47], v49, v49                         // 000000005454: D048002E 00026331
	v_add3_u32 v16, v49, v19, 1                                // 00000000545C: D1FF0010 02062731
	v_cndmask_b32_e64 v5, v16, v18, s[46:47]                   // 000000005464: D1000005 00BA2510
	v_perm_b32 v48, v5, v4, s52                                // 00000000546C: D1ED0030 00D20905
	v_cmp_u_f32_e64 s[46:47], v50, v50                         // 000000005474: D048002E 00026532
	v_add3_u32 v16, v50, v19, 1                                // 00000000547C: D1FF0010 02062732
	v_cndmask_b32_e64 v4, v16, v18, s[46:47]                   // 000000005484: D1000004 00BA2510
	v_cmp_u_f32_e64 s[46:47], v51, v51                         // 00000000548C: D048002E 00026733
	v_add3_u32 v16, v51, v19, 1                                // 000000005494: D1FF0010 02062733
	v_cndmask_b32_e64 v5, v16, v18, s[46:47]                   // 00000000549C: D1000005 00BA2510
	v_perm_b32 v49, v5, v4, s52                                // 0000000054A4: D1ED0031 00D20905
	v_cmp_u_f32_e64 s[46:47], v52, v52                         // 0000000054AC: D048002E 00026934
	v_add3_u32 v16, v52, v19, 1                                // 0000000054B4: D1FF0010 02062734
	v_cndmask_b32_e64 v4, v16, v18, s[46:47]                   // 0000000054BC: D1000004 00BA2510
	v_cmp_u_f32_e64 s[46:47], v53, v53                         // 0000000054C4: D048002E 00026B35
	v_add3_u32 v16, v53, v19, 1                                // 0000000054CC: D1FF0010 02062735
	v_cndmask_b32_e64 v5, v16, v18, s[46:47]                   // 0000000054D4: D1000005 00BA2510
	v_perm_b32 v50, v5, v4, s52                                // 0000000054DC: D1ED0032 00D20905
	v_cmp_u_f32_e64 s[46:47], v54, v54                         // 0000000054E4: D048002E 00026D36
	v_add3_u32 v16, v54, v19, 1                                // 0000000054EC: D1FF0010 02062736
	v_cndmask_b32_e64 v4, v16, v18, s[46:47]                   // 0000000054F4: D1000004 00BA2510
	v_cmp_u_f32_e64 s[46:47], v55, v55                         // 0000000054FC: D048002E 00026F37
	v_add3_u32 v16, v55, v19, 1                                // 000000005504: D1FF0010 02062737
	v_cndmask_b32_e64 v5, v16, v18, s[46:47]                   // 00000000550C: D1000005 00BA2510
	v_perm_b32 v51, v5, v4, s52                                // 000000005514: D1ED0033 00D20905
	v_cmp_u_f32_e64 s[46:47], v56, v56                         // 00000000551C: D048002E 00027138
	v_add3_u32 v16, v56, v19, 1                                // 000000005524: D1FF0010 02062738
	v_cndmask_b32_e64 v4, v16, v18, s[46:47]                   // 00000000552C: D1000004 00BA2510
	v_cmp_u_f32_e64 s[46:47], v57, v57                         // 000000005534: D048002E 00027339
	v_add3_u32 v16, v57, v19, 1                                // 00000000553C: D1FF0010 02062739
	v_cndmask_b32_e64 v5, v16, v18, s[46:47]                   // 000000005544: D1000005 00BA2510
	v_perm_b32 v52, v5, v4, s52                                // 00000000554C: D1ED0034 00D20905
	v_cmp_u_f32_e64 s[46:47], v58, v58                         // 000000005554: D048002E 0002753A
	v_add3_u32 v16, v58, v19, 1                                // 00000000555C: D1FF0010 0206273A
	v_cndmask_b32_e64 v4, v16, v18, s[46:47]                   // 000000005564: D1000004 00BA2510
	v_cmp_u_f32_e64 s[46:47], v59, v59                         // 00000000556C: D048002E 0002773B
	v_add3_u32 v16, v59, v19, 1                                // 000000005574: D1FF0010 0206273B
	v_cndmask_b32_e64 v5, v16, v18, s[46:47]                   // 00000000557C: D1000005 00BA2510
	v_perm_b32 v53, v5, v4, s52                                // 000000005584: D1ED0035 00D20905
	v_cmp_u_f32_e64 s[46:47], v60, v60                         // 00000000558C: D048002E 0002793C
	v_add3_u32 v16, v60, v19, 1                                // 000000005594: D1FF0010 0206273C
	v_cndmask_b32_e64 v4, v16, v18, s[46:47]                   // 00000000559C: D1000004 00BA2510
	v_cmp_u_f32_e64 s[46:47], v61, v61                         // 0000000055A4: D048002E 00027B3D
	v_add3_u32 v16, v61, v19, 1                                // 0000000055AC: D1FF0010 0206273D
	v_cndmask_b32_e64 v5, v16, v18, s[46:47]                   // 0000000055B4: D1000005 00BA2510
	v_perm_b32 v54, v5, v4, s52                                // 0000000055BC: D1ED0036 00D20905
	v_cmp_u_f32_e64 s[46:47], v62, v62                         // 0000000055C4: D048002E 00027D3E
	v_add3_u32 v16, v62, v19, 1                                // 0000000055CC: D1FF0010 0206273E
	v_cndmask_b32_e64 v4, v16, v18, s[46:47]                   // 0000000055D4: D1000004 00BA2510
	v_cmp_u_f32_e64 s[46:47], v63, v63                         // 0000000055DC: D048002E 00027F3F
	v_add3_u32 v16, v63, v19, 1                                // 0000000055E4: D1FF0010 0206273F
	v_cndmask_b32_e64 v5, v16, v18, s[46:47]                   // 0000000055EC: D1000005 00BA2510
	v_perm_b32 v55, v5, v4, s52                                // 0000000055F4: D1ED0037 00D20905
	v_cmp_u_f32_e64 s[46:47], v64, v64                         // 0000000055FC: D048002E 00028140
	v_add3_u32 v16, v64, v19, 1                                // 000000005604: D1FF0010 02062740
	v_cndmask_b32_e64 v4, v16, v18, s[46:47]                   // 00000000560C: D1000004 00BA2510
	v_cmp_u_f32_e64 s[46:47], v65, v65                         // 000000005614: D048002E 00028341
	v_add3_u32 v16, v65, v19, 1                                // 00000000561C: D1FF0010 02062741
	v_cndmask_b32_e64 v5, v16, v18, s[46:47]                   // 000000005624: D1000005 00BA2510
	v_perm_b32 v56, v5, v4, s52                                // 00000000562C: D1ED0038 00D20905
	v_cmp_u_f32_e64 s[46:47], v66, v66                         // 000000005634: D048002E 00028542
	v_add3_u32 v16, v66, v19, 1                                // 00000000563C: D1FF0010 02062742
	v_cndmask_b32_e64 v4, v16, v18, s[46:47]                   // 000000005644: D1000004 00BA2510
	v_cmp_u_f32_e64 s[46:47], v67, v67                         // 00000000564C: D048002E 00028743
	v_add3_u32 v16, v67, v19, 1                                // 000000005654: D1FF0010 02062743
	v_cndmask_b32_e64 v5, v16, v18, s[46:47]                   // 00000000565C: D1000005 00BA2510
	v_perm_b32 v57, v5, v4, s52                                // 000000005664: D1ED0039 00D20905
	v_cmp_u_f32_e64 s[46:47], v68, v68                         // 00000000566C: D048002E 00028944
	v_add3_u32 v16, v68, v19, 1                                // 000000005674: D1FF0010 02062744
	v_cndmask_b32_e64 v4, v16, v18, s[46:47]                   // 00000000567C: D1000004 00BA2510
	v_cmp_u_f32_e64 s[46:47], v69, v69                         // 000000005684: D048002E 00028B45
	v_add3_u32 v16, v69, v19, 1                                // 00000000568C: D1FF0010 02062745
	v_cndmask_b32_e64 v5, v16, v18, s[46:47]                   // 000000005694: D1000005 00BA2510
	v_perm_b32 v58, v5, v4, s52                                // 00000000569C: D1ED003A 00D20905
	v_cmp_u_f32_e64 s[46:47], v70, v70                         // 0000000056A4: D048002E 00028D46
	v_add3_u32 v16, v70, v19, 1                                // 0000000056AC: D1FF0010 02062746
	v_cndmask_b32_e64 v4, v16, v18, s[46:47]                   // 0000000056B4: D1000004 00BA2510
	v_cmp_u_f32_e64 s[46:47], v71, v71                         // 0000000056BC: D048002E 00028F47
	v_add3_u32 v16, v71, v19, 1                                // 0000000056C4: D1FF0010 02062747
	v_cndmask_b32_e64 v5, v16, v18, s[46:47]                   // 0000000056CC: D1000005 00BA2510
	v_perm_b32 v59, v5, v4, s52                                // 0000000056D4: D1ED003B 00D20905
	v_cmp_u_f32_e64 s[46:47], v72, v72                         // 0000000056DC: D048002E 00029148
	v_add3_u32 v16, v72, v19, 1                                // 0000000056E4: D1FF0010 02062748
	v_cndmask_b32_e64 v4, v16, v18, s[46:47]                   // 0000000056EC: D1000004 00BA2510
	v_cmp_u_f32_e64 s[46:47], v73, v73                         // 0000000056F4: D048002E 00029349
	v_add3_u32 v16, v73, v19, 1                                // 0000000056FC: D1FF0010 02062749
	v_cndmask_b32_e64 v5, v16, v18, s[46:47]                   // 000000005704: D1000005 00BA2510
	v_perm_b32 v60, v5, v4, s52                                // 00000000570C: D1ED003C 00D20905
	v_cmp_u_f32_e64 s[46:47], v74, v74                         // 000000005714: D048002E 0002954A
	v_add3_u32 v16, v74, v19, 1                                // 00000000571C: D1FF0010 0206274A
	v_cndmask_b32_e64 v4, v16, v18, s[46:47]                   // 000000005724: D1000004 00BA2510
	v_cmp_u_f32_e64 s[46:47], v75, v75                         // 00000000572C: D048002E 0002974B
	v_add3_u32 v16, v75, v19, 1                                // 000000005734: D1FF0010 0206274B
	v_cndmask_b32_e64 v5, v16, v18, s[46:47]                   // 00000000573C: D1000005 00BA2510
	v_perm_b32 v61, v5, v4, s52                                // 000000005744: D1ED003D 00D20905
	v_cmp_u_f32_e64 s[46:47], v76, v76                         // 00000000574C: D048002E 0002994C
	v_add3_u32 v16, v76, v19, 1                                // 000000005754: D1FF0010 0206274C
	v_cndmask_b32_e64 v4, v16, v18, s[46:47]                   // 00000000575C: D1000004 00BA2510
	v_cmp_u_f32_e64 s[46:47], v77, v77                         // 000000005764: D048002E 00029B4D
	v_add3_u32 v16, v77, v19, 1                                // 00000000576C: D1FF0010 0206274D
	v_cndmask_b32_e64 v5, v16, v18, s[46:47]                   // 000000005774: D1000005 00BA2510
	v_perm_b32 v62, v5, v4, s52                                // 00000000577C: D1ED003E 00D20905
	v_cmp_u_f32_e64 s[46:47], v78, v78                         // 000000005784: D048002E 00029D4E
	v_add3_u32 v16, v78, v19, 1                                // 00000000578C: D1FF0010 0206274E
	v_cndmask_b32_e64 v4, v16, v18, s[46:47]                   // 000000005794: D1000004 00BA2510
	v_cmp_u_f32_e64 s[46:47], v79, v79                         // 00000000579C: D048002E 00029F4F
	v_add3_u32 v16, v79, v19, 1                                // 0000000057A4: D1FF0010 0206274F
	v_cndmask_b32_e64 v5, v16, v18, s[46:47]                   // 0000000057AC: D1000005 00BA2510
	v_perm_b32 v63, v5, v4, s52                                // 0000000057B4: D1ED003F 00D20905
	ds_write_b64 v20, v[48:49]                                 // 0000000057BC: D89A0000 00003014
	ds_write_b64 v20, v[50:51] offset:2176                     // 0000000057C4: D89A0880 00003214
	ds_write_b64 v20, v[52:53] offset:4352                     // 0000000057CC: D89A1100 00003414
	ds_write_b64 v20, v[54:55] offset:6528                     // 0000000057D4: D89A1980 00003614
	ds_write_b64 v20, v[56:57] offset:8704                     // 0000000057DC: D89A2200 00003814
	ds_write_b64 v20, v[58:59] offset:10880                    // 0000000057E4: D89A2A80 00003A14
	ds_write_b64 v20, v[60:61] offset:13056                    // 0000000057EC: D89A3300 00003C14
	ds_write_b64 v20, v[62:63] offset:15232                    // 0000000057F4: D89A3B80 00003E14
	v_lshrrev_b32_e32 v4, 5, v0                                // 0000000057FC: 20080085
	v_xor_b32_e32 v5, 1, v4                                    // 000000005800: 2A0A0881
	s_mul_i32 s60, s65, 2                                      // 000000005804: 923C8241
	s_cmp_eq_u32 s88, 0                                        // 000000005808: BF068058
	s_cselect_b32 s61, 1, 4                                    // 00000000580C: 853D8481
	s_mul_i32 s60, s61, s60                                    // 000000005810: 923C3C3D
	v_readlane_b32 s82, v3, 0                                  // 000000005814: D2890052 00010103
	s_lshr_b32 s61, s82, 24                                    // 00000000581C: 8F3D9852
	s_and_b32 s82, s82, 0xffffff                               // 000000005820: 8652FF52 00FFFFFF
	s_mul_i32 s82, s82, s71                                    // 000000005828: 92524752
	s_mul_i32 s61, s60, s61                                    // 00000000582C: 923D3D3C
	s_add_u32 s82, s82, s61                                    // 000000005830: 80523D52
	v_mul_lo_u32 v6, v5, s82                                   // 000000005834: D2850006 0000A505
	v_readlane_b32 s82, v3, 1                                  // 00000000583C: D2890052 00010303
	s_lshr_b32 s61, s82, 24                                    // 000000005844: 8F3D9852
	s_and_b32 s82, s82, 0xffffff                               // 000000005848: 8652FF52 00FFFFFF
	s_mul_i32 s82, s82, s71                                    // 000000005850: 92524752
	s_mul_i32 s61, s60, s61                                    // 000000005854: 923D3D3C
	s_add_u32 s82, s82, s61                                    // 000000005858: 80523D52
	v_mul_lo_u32 v7, v4, s82                                   // 00000000585C: D2850007 0000A504
	v_add_u32_e32 v35, v6, v7                                  // 000000005864: 68460F06
	v_readlane_b32 s82, v3, 2                                  // 000000005868: D2890052 00010503
	s_lshr_b32 s61, s82, 24                                    // 000000005870: 8F3D9852
	s_and_b32 s82, s82, 0xffffff                               // 000000005874: 8652FF52 00FFFFFF
	s_mul_i32 s82, s82, s71                                    // 00000000587C: 92524752
	s_mul_i32 s61, s60, s61                                    // 000000005880: 923D3D3C
	s_add_u32 s82, s82, s61                                    // 000000005884: 80523D52
	v_mul_lo_u32 v6, v5, s82                                   // 000000005888: D2850006 0000A505
	v_readlane_b32 s82, v3, 3                                  // 000000005890: D2890052 00010703
	s_lshr_b32 s61, s82, 24                                    // 000000005898: 8F3D9852
	s_and_b32 s82, s82, 0xffffff                               // 00000000589C: 8652FF52 00FFFFFF
	s_mul_i32 s82, s82, s71                                    // 0000000058A4: 92524752
	s_mul_i32 s61, s60, s61                                    // 0000000058A8: 923D3D3C
	s_add_u32 s82, s82, s61                                    // 0000000058AC: 80523D52
	v_mul_lo_u32 v7, v4, s82                                   // 0000000058B0: D2850007 0000A504
	v_add_u32_e32 v36, v6, v7                                  // 0000000058B8: 68480F06
	v_and_b32_e32 v4, 31, v0                                   // 0000000058BC: 2608009F
	v_lshrrev_b32_e32 v4, 1, v4                                // 0000000058C0: 20080881
	s_cmp_eq_u32 s88, 0                                        // 0000000058C4: BF068058
	s_cselect_b32 s61, 2, 4                                    // 0000000058C8: 853D8482
	v_mul_lo_u32 v4, v4, s61                                   // 0000000058CC: D2850004 00007B04
	v_and_b32_e64 v5, v0, 1                                    // 0000000058D4: D1130005 00010300
	v_add_u32_e32 v4, v4, v5                                   // 0000000058DC: 68080B04
	v_lshlrev_b32_e32 v4, 2, v4                                // 0000000058E0: 24080882
	v_add_u32_e32 v35, v35, v4                                 // 0000000058E4: 68460923
	v_add_u32_e32 v36, v36, v4                                 // 0000000058E8: 68480924
	s_waitcnt lgkmcnt(0)                                       // 0000000058EC: BF8CC07F
	s_barrier                                                  // 0000000058F0: BF8A0000
	ds_read_b32 v48, v21                                       // 0000000058F4: D86C0000 30000015
	ds_read_b32 v49, v21 offset:64                             // 0000000058FC: D86C0040 31000015
	ds_read_b32 v50, v21 offset:2176                           // 000000005904: D86C0880 32000015
	ds_read_b32 v51, v21 offset:2240                           // 00000000590C: D86C08C0 33000015
	ds_read_b32 v52, v21 offset:4352                           // 000000005914: D86C1100 34000015
	ds_read_b32 v53, v21 offset:4416                           // 00000000591C: D86C1140 35000015
	ds_read_b32 v54, v21 offset:6528                           // 000000005924: D86C1980 36000015
	ds_read_b32 v55, v21 offset:6592                           // 00000000592C: D86C19C0 37000015
	ds_read_b32 v56, v21 offset:8704                           // 000000005934: D86C2200 38000015
	ds_read_b32 v57, v21 offset:8768                           // 00000000593C: D86C2240 39000015
	ds_read_b32 v58, v21 offset:10880                          // 000000005944: D86C2A80 3A000015
	ds_read_b32 v59, v21 offset:10944                          // 00000000594C: D86C2AC0 3B000015
	ds_read_b32 v60, v21 offset:13056                          // 000000005954: D86C3300 3C000015
	ds_read_b32 v61, v21 offset:13120                          // 00000000595C: D86C3340 3D000015
	ds_read_b32 v62, v21 offset:15232                          // 000000005964: D86C3B80 3E000015
	ds_read_b32 v63, v21 offset:15296                          // 00000000596C: D86C3BC0 3F000015
	s_waitcnt lgkmcnt(0)                                       // 000000005974: BF8CC07F
	s_mov_b32 s36, -1                                          // 000000005978: BEA400C1
	s_mov_b32 s37, -1                                          // 00000000597C: BEA500C1
	v_mov_b32_e32 v7, 0                                        // 000000005980: 7E0E0280
	s_or_b32 s9, s9, 0x40000                                   // 000000005984: 8709FF09 00040000
	s_mov_b64 exec, s[36:37]                                   // 00000000598C: BEFE0124
	v_mov_b32_e32 v6, v35                                      // 000000005990: 7E0C0323
	s_mov_b64 s[60:61], 0                                      // 000000005994: BEBC0180
	v_readlane_b32 s82, v3, 0                                  // 000000005998: D2890052 00010103
	s_and_b32 s82, s82, 0xffffff                               // 0000000059A0: 8652FF52 00FFFFFF
	s_cmp_lt_u32 s82, s66                                      // 0000000059A8: BF0A4252
	s_cselect_b32 s20, s36, s60                                // 0000000059AC: 85143C24
	v_readlane_b32 s82, v3, 1                                  // 0000000059B0: D2890052 00010303
	s_and_b32 s82, s82, 0xffffff                               // 0000000059B8: 8652FF52 00FFFFFF
	s_cmp_lt_u32 s82, s66                                      // 0000000059C0: BF0A4252
	s_cselect_b32 s21, s36, s60                                // 0000000059C4: 85153C24
	s_mov_b64 exec, s[20:21]                                   // 0000000059C8: BEFE0114
	buffer_store_dword v48, v6, s[8:11], 0 offen               // 0000000059CC: E0701000 80023006
	buffer_store_dword v50, v6, s[8:11], 0 offen offset:128    // 0000000059D4: E0701080 80023206
	buffer_store_dword v52, v6, s[8:11], 0 offen offset:256    // 0000000059DC: E0701100 80023406
	buffer_store_dword v54, v6, s[8:11], 0 offen offset:384    // 0000000059E4: E0701180 80023606
	buffer_store_dword v56, v6, s[8:11], 0 offen offset:512    // 0000000059EC: E0701200 80023806
	buffer_store_dword v58, v6, s[8:11], 0 offen offset:640    // 0000000059F4: E0701280 80023A06
	buffer_store_dword v60, v6, s[8:11], 0 offen offset:768    // 0000000059FC: E0701300 80023C06
	buffer_store_dword v62, v6, s[8:11], 0 offen offset:896    // 000000005A04: E0701380 80023E06
	s_mov_b64 exec, s[36:37]                                   // 000000005A0C: BEFE0124
	v_mov_b32_e32 v6, v36                                      // 000000005A10: 7E0C0324
	s_mov_b64 s[60:61], 0                                      // 000000005A14: BEBC0180
	v_readlane_b32 s82, v3, 2                                  // 000000005A18: D2890052 00010503
	s_and_b32 s82, s82, 0xffffff                               // 000000005A20: 8652FF52 00FFFFFF
	s_cmp_lt_u32 s82, s66                                      // 000000005A28: BF0A4252
	s_cselect_b32 s20, s36, s60                                // 000000005A2C: 85143C24
	v_readlane_b32 s82, v3, 3                                  // 000000005A30: D2890052 00010703
	s_and_b32 s82, s82, 0xffffff                               // 000000005A38: 8652FF52 00FFFFFF
	s_cmp_lt_u32 s82, s66                                      // 000000005A40: BF0A4252
	s_cselect_b32 s21, s36, s60                                // 000000005A44: 85153C24
	s_mov_b64 exec, s[20:21]                                   // 000000005A48: BEFE0114
	buffer_store_dword v49, v6, s[8:11], 0 offen               // 000000005A4C: E0701000 80023106
	buffer_store_dword v51, v6, s[8:11], 0 offen offset:128    // 000000005A54: E0701080 80023306
	buffer_store_dword v53, v6, s[8:11], 0 offen offset:256    // 000000005A5C: E0701100 80023506
	buffer_store_dword v55, v6, s[8:11], 0 offen offset:384    // 000000005A64: E0701180 80023706
	buffer_store_dword v57, v6, s[8:11], 0 offen offset:512    // 000000005A6C: E0701200 80023906
	buffer_store_dword v59, v6, s[8:11], 0 offen offset:640    // 000000005A74: E0701280 80023B06
	buffer_store_dword v61, v6, s[8:11], 0 offen offset:768    // 000000005A7C: E0701300 80023D06
	buffer_store_dword v63, v6, s[8:11], 0 offen offset:896    // 000000005A84: E0701380 80023F06
	s_mov_b64 exec, s[36:37]                                   // 000000005A8C: BEFE0124
	s_branch label_1A88                                        // 000000005A90: BF820E60

0000000000005a94 <label_0C25>:
	ds_write_b64 v20, v[48:49]                                 // 000000005A94: D89A0000 00003014
	ds_write_b64 v20, v[52:53] offset:2176                     // 000000005A9C: D89A0880 00003414
	ds_write_b64 v20, v[56:57] offset:4352                     // 000000005AA4: D89A1100 00003814
	ds_write_b64 v20, v[60:61] offset:6528                     // 000000005AAC: D89A1980 00003C14
	ds_write_b64 v20, v[64:65] offset:8704                     // 000000005AB4: D89A2200 00004014
	ds_write_b64 v20, v[68:69] offset:10880                    // 000000005ABC: D89A2A80 00004414
	ds_write_b64 v20, v[72:73] offset:13056                    // 000000005AC4: D89A3300 00004814
	ds_write_b64 v20, v[76:77] offset:15232                    // 000000005ACC: D89A3B80 00004C14
	v_lshrrev_b32_e32 v4, 5, v0                                // 000000005AD4: 20080085
	v_xor_b32_e32 v5, 1, v4                                    // 000000005AD8: 2A0A0881
	s_mul_i32 s60, s65, 2                                      // 000000005ADC: 923C8241
	s_cmp_eq_u32 s88, 0                                        // 000000005AE0: BF068058
	s_cselect_b32 s61, 1, 4                                    // 000000005AE4: 853D8481
	s_mul_i32 s60, s61, s60                                    // 000000005AE8: 923C3C3D
	v_readlane_b32 s82, v3, 0                                  // 000000005AEC: D2890052 00010103
	s_lshr_b32 s61, s82, 24                                    // 000000005AF4: 8F3D9852
	s_and_b32 s82, s82, 0xffffff                               // 000000005AF8: 8652FF52 00FFFFFF
	s_mul_i32 s82, s82, s71                                    // 000000005B00: 92524752
	s_mul_i32 s61, s60, s61                                    // 000000005B04: 923D3D3C
	s_add_u32 s82, s82, s61                                    // 000000005B08: 80523D52
	v_mul_lo_u32 v6, v5, s82                                   // 000000005B0C: D2850006 0000A505
	v_readlane_b32 s82, v3, 1                                  // 000000005B14: D2890052 00010303
	s_lshr_b32 s61, s82, 24                                    // 000000005B1C: 8F3D9852
	s_and_b32 s82, s82, 0xffffff                               // 000000005B20: 8652FF52 00FFFFFF
	s_mul_i32 s82, s82, s71                                    // 000000005B28: 92524752
	s_mul_i32 s61, s60, s61                                    // 000000005B2C: 923D3D3C
	s_add_u32 s82, s82, s61                                    // 000000005B30: 80523D52
	v_mul_lo_u32 v7, v4, s82                                   // 000000005B34: D2850007 0000A504
	v_add_u32_e32 v35, v6, v7                                  // 000000005B3C: 68460F06
	v_readlane_b32 s82, v3, 2                                  // 000000005B40: D2890052 00010503
	s_lshr_b32 s61, s82, 24                                    // 000000005B48: 8F3D9852
	s_and_b32 s82, s82, 0xffffff                               // 000000005B4C: 8652FF52 00FFFFFF
	s_mul_i32 s82, s82, s71                                    // 000000005B54: 92524752
	s_mul_i32 s61, s60, s61                                    // 000000005B58: 923D3D3C
	s_add_u32 s82, s82, s61                                    // 000000005B5C: 80523D52
	v_mul_lo_u32 v6, v5, s82                                   // 000000005B60: D2850006 0000A505
	v_readlane_b32 s82, v3, 3                                  // 000000005B68: D2890052 00010703
	s_lshr_b32 s61, s82, 24                                    // 000000005B70: 8F3D9852
	s_and_b32 s82, s82, 0xffffff                               // 000000005B74: 8652FF52 00FFFFFF
	s_mul_i32 s82, s82, s71                                    // 000000005B7C: 92524752
	s_mul_i32 s61, s60, s61                                    // 000000005B80: 923D3D3C
	s_add_u32 s82, s82, s61                                    // 000000005B84: 80523D52
	v_mul_lo_u32 v7, v4, s82                                   // 000000005B88: D2850007 0000A504
	v_add_u32_e32 v36, v6, v7                                  // 000000005B90: 68480F06
	v_and_b32_e32 v4, 31, v0                                   // 000000005B94: 2608009F
	v_lshrrev_b32_e32 v4, 1, v4                                // 000000005B98: 20080881
	s_cmp_eq_u32 s88, 0                                        // 000000005B9C: BF068058
	s_cselect_b32 s61, 2, 4                                    // 000000005BA0: 853D8482
	v_mul_lo_u32 v4, v4, s61                                   // 000000005BA4: D2850004 00007B04
	v_and_b32_e64 v5, v0, 1                                    // 000000005BAC: D1130005 00010300
	v_add_u32_e32 v4, v4, v5                                   // 000000005BB4: 68080B04
	v_lshlrev_b32_e32 v4, 2, v4                                // 000000005BB8: 24080882
	v_add_u32_e32 v35, v35, v4                                 // 000000005BBC: 68460923
	v_add_u32_e32 v36, v36, v4                                 // 000000005BC0: 68480924
	s_waitcnt lgkmcnt(0)                                       // 000000005BC4: BF8CC07F
	s_barrier                                                  // 000000005BC8: BF8A0000
	ds_read_b32 v48, v21                                       // 000000005BCC: D86C0000 30000015
	ds_read_b32 v49, v21 offset:64                             // 000000005BD4: D86C0040 31000015
	ds_read_b32 v52, v21 offset:2176                           // 000000005BDC: D86C0880 34000015
	ds_read_b32 v53, v21 offset:2240                           // 000000005BE4: D86C08C0 35000015
	ds_read_b32 v56, v21 offset:4352                           // 000000005BEC: D86C1100 38000015
	ds_read_b32 v57, v21 offset:4416                           // 000000005BF4: D86C1140 39000015
	ds_read_b32 v60, v21 offset:6528                           // 000000005BFC: D86C1980 3C000015
	ds_read_b32 v61, v21 offset:6592                           // 000000005C04: D86C19C0 3D000015
	ds_read_b32 v64, v21 offset:8704                           // 000000005C0C: D86C2200 40000015
	ds_read_b32 v65, v21 offset:8768                           // 000000005C14: D86C2240 41000015
	ds_read_b32 v68, v21 offset:10880                          // 000000005C1C: D86C2A80 44000015
	ds_read_b32 v69, v21 offset:10944                          // 000000005C24: D86C2AC0 45000015
	ds_read_b32 v72, v21 offset:13056                          // 000000005C2C: D86C3300 48000015
	ds_read_b32 v73, v21 offset:13120                          // 000000005C34: D86C3340 49000015
	ds_read_b32 v76, v21 offset:15232                          // 000000005C3C: D86C3B80 4C000015
	ds_read_b32 v77, v21 offset:15296                          // 000000005C44: D86C3BC0 4D000015
	s_waitcnt lgkmcnt(0)                                       // 000000005C4C: BF8CC07F
	s_mov_b32 s36, -1                                          // 000000005C50: BEA400C1
	s_mov_b32 s37, -1                                          // 000000005C54: BEA500C1
	v_mov_b32_e32 v7, 0                                        // 000000005C58: 7E0E0280
	s_mov_b64 exec, s[36:37]                                   // 000000005C5C: BEFE0124
	v_mov_b32_e32 v6, v35                                      // 000000005C60: 7E0C0323
	s_mov_b64 s[60:61], 0                                      // 000000005C64: BEBC0180
	v_readlane_b32 s82, v3, 0                                  // 000000005C68: D2890052 00010103
	s_and_b32 s82, s82, 0xffffff                               // 000000005C70: 8652FF52 00FFFFFF
	s_cmp_lt_u32 s82, s66                                      // 000000005C78: BF0A4252
	s_cselect_b32 s20, s36, s60                                // 000000005C7C: 85143C24
	v_readlane_b32 s82, v3, 1                                  // 000000005C80: D2890052 00010303
	s_and_b32 s82, s82, 0xffffff                               // 000000005C88: 8652FF52 00FFFFFF
	s_cmp_lt_u32 s82, s66                                      // 000000005C90: BF0A4252
	s_cselect_b32 s21, s36, s60                                // 000000005C94: 85153C24
	s_mov_b64 exec, s[20:21]                                   // 000000005C98: BEFE0114
	global_atomic_add_f32 v6, v48, s[8:9]                      // 000000005C9C: DD348000 00083006
	global_atomic_add_f32 v6, v52, s[8:9] offset:256           // 000000005CA4: DD348100 00083406
	global_atomic_add_f32 v6, v56, s[8:9] offset:512           // 000000005CAC: DD348200 00083806
	global_atomic_add_f32 v6, v60, s[8:9] offset:768           // 000000005CB4: DD348300 00083C06
	global_atomic_add_f32 v6, v64, s[8:9] offset:1024          // 000000005CBC: DD348400 00084006
	global_atomic_add_f32 v6, v68, s[8:9] offset:1280          // 000000005CC4: DD348500 00084406
	global_atomic_add_f32 v6, v72, s[8:9] offset:1536          // 000000005CCC: DD348600 00084806
	global_atomic_add_f32 v6, v76, s[8:9] offset:1792          // 000000005CD4: DD348700 00084C06
	s_mov_b64 exec, s[36:37]                                   // 000000005CDC: BEFE0124
	v_mov_b32_e32 v6, v36                                      // 000000005CE0: 7E0C0324
	s_mov_b64 s[60:61], 0                                      // 000000005CE4: BEBC0180
	v_readlane_b32 s82, v3, 2                                  // 000000005CE8: D2890052 00010503
	s_and_b32 s82, s82, 0xffffff                               // 000000005CF0: 8652FF52 00FFFFFF
	s_cmp_lt_u32 s82, s66                                      // 000000005CF8: BF0A4252
	s_cselect_b32 s20, s36, s60                                // 000000005CFC: 85143C24
	v_readlane_b32 s82, v3, 3                                  // 000000005D00: D2890052 00010703
	s_and_b32 s82, s82, 0xffffff                               // 000000005D08: 8652FF52 00FFFFFF
	s_cmp_lt_u32 s82, s66                                      // 000000005D10: BF0A4252
	s_cselect_b32 s21, s36, s60                                // 000000005D14: 85153C24
	s_mov_b64 exec, s[20:21]                                   // 000000005D18: BEFE0114
	global_atomic_add_f32 v6, v49, s[8:9]                      // 000000005D1C: DD348000 00083106
	global_atomic_add_f32 v6, v53, s[8:9] offset:256           // 000000005D24: DD348100 00083506
	global_atomic_add_f32 v6, v57, s[8:9] offset:512           // 000000005D2C: DD348200 00083906
	global_atomic_add_f32 v6, v61, s[8:9] offset:768           // 000000005D34: DD348300 00083D06
	global_atomic_add_f32 v6, v65, s[8:9] offset:1024          // 000000005D3C: DD348400 00084106
	global_atomic_add_f32 v6, v69, s[8:9] offset:1280          // 000000005D44: DD348500 00084506
	global_atomic_add_f32 v6, v73, s[8:9] offset:1536          // 000000005D4C: DD348600 00084906
	global_atomic_add_f32 v6, v77, s[8:9] offset:1792          // 000000005D54: DD348700 00084D06
	s_mov_b64 exec, s[36:37]                                   // 000000005D5C: BEFE0124
	ds_write_b64 v20, v[50:51]                                 // 000000005D60: D89A0000 00003214
	ds_write_b64 v20, v[54:55] offset:2176                     // 000000005D68: D89A0880 00003614
	ds_write_b64 v20, v[58:59] offset:4352                     // 000000005D70: D89A1100 00003A14
	ds_write_b64 v20, v[62:63] offset:6528                     // 000000005D78: D89A1980 00003E14
	ds_write_b64 v20, v[66:67] offset:8704                     // 000000005D80: D89A2200 00004214
	ds_write_b64 v20, v[70:71] offset:10880                    // 000000005D88: D89A2A80 00004614
	ds_write_b64 v20, v[74:75] offset:13056                    // 000000005D90: D89A3300 00004A14
	ds_write_b64 v20, v[78:79] offset:15232                    // 000000005D98: D89A3B80 00004E14
	s_waitcnt lgkmcnt(0)                                       // 000000005DA0: BF8CC07F
	s_barrier                                                  // 000000005DA4: BF8A0000
	ds_read_b32 v50, v21                                       // 000000005DA8: D86C0000 32000015
	ds_read_b32 v51, v21 offset:64                             // 000000005DB0: D86C0040 33000015
	ds_read_b32 v54, v21 offset:2176                           // 000000005DB8: D86C0880 36000015
	ds_read_b32 v55, v21 offset:2240                           // 000000005DC0: D86C08C0 37000015
	ds_read_b32 v58, v21 offset:4352                           // 000000005DC8: D86C1100 3A000015
	ds_read_b32 v59, v21 offset:4416                           // 000000005DD0: D86C1140 3B000015
	ds_read_b32 v62, v21 offset:6528                           // 000000005DD8: D86C1980 3E000015
	ds_read_b32 v63, v21 offset:6592                           // 000000005DE0: D86C19C0 3F000015
	ds_read_b32 v66, v21 offset:8704                           // 000000005DE8: D86C2200 42000015
	ds_read_b32 v67, v21 offset:8768                           // 000000005DF0: D86C2240 43000015
	ds_read_b32 v70, v21 offset:10880                          // 000000005DF8: D86C2A80 46000015
	ds_read_b32 v71, v21 offset:10944                          // 000000005E00: D86C2AC0 47000015
	ds_read_b32 v74, v21 offset:13056                          // 000000005E08: D86C3300 4A000015
	ds_read_b32 v75, v21 offset:13120                          // 000000005E10: D86C3340 4B000015
	ds_read_b32 v78, v21 offset:15232                          // 000000005E18: D86C3B80 4E000015
	ds_read_b32 v79, v21 offset:15296                          // 000000005E20: D86C3BC0 4F000015
	s_waitcnt lgkmcnt(0)                                       // 000000005E28: BF8CC07F
	v_mov_b32_e32 v7, 0                                        // 000000005E2C: 7E0E0280
	s_mov_b64 exec, s[36:37]                                   // 000000005E30: BEFE0124
	v_mov_b32_e32 v6, v35                                      // 000000005E34: 7E0C0323
	s_mov_b64 s[60:61], 0                                      // 000000005E38: BEBC0180
	v_readlane_b32 s82, v3, 0                                  // 000000005E3C: D2890052 00010103
	s_and_b32 s82, s82, 0xffffff                               // 000000005E44: 8652FF52 00FFFFFF
	s_cmp_lt_u32 s82, s66                                      // 000000005E4C: BF0A4252
	s_cselect_b32 s20, s36, s60                                // 000000005E50: 85143C24
	v_readlane_b32 s82, v3, 1                                  // 000000005E54: D2890052 00010303
	s_and_b32 s82, s82, 0xffffff                               // 000000005E5C: 8652FF52 00FFFFFF
	s_cmp_lt_u32 s82, s66                                      // 000000005E64: BF0A4252
	s_cselect_b32 s21, s36, s60                                // 000000005E68: 85153C24
	s_mov_b64 exec, s[20:21]                                   // 000000005E6C: BEFE0114
	global_atomic_add_f32 v6, v50, s[8:9] offset:8             // 000000005E70: DD348008 00083206
	global_atomic_add_f32 v6, v54, s[8:9] offset:264           // 000000005E78: DD348108 00083606
	global_atomic_add_f32 v6, v58, s[8:9] offset:520           // 000000005E80: DD348208 00083A06
	global_atomic_add_f32 v6, v62, s[8:9] offset:776           // 000000005E88: DD348308 00083E06
	global_atomic_add_f32 v6, v66, s[8:9] offset:1032          // 000000005E90: DD348408 00084206
	global_atomic_add_f32 v6, v70, s[8:9] offset:1288          // 000000005E98: DD348508 00084606
	global_atomic_add_f32 v6, v74, s[8:9] offset:1544          // 000000005EA0: DD348608 00084A06
	global_atomic_add_f32 v6, v78, s[8:9] offset:1800          // 000000005EA8: DD348708 00084E06
	s_mov_b64 exec, s[36:37]                                   // 000000005EB0: BEFE0124
	v_mov_b32_e32 v6, v36                                      // 000000005EB4: 7E0C0324
	s_mov_b64 s[60:61], 0                                      // 000000005EB8: BEBC0180
	v_readlane_b32 s82, v3, 2                                  // 000000005EBC: D2890052 00010503
	s_and_b32 s82, s82, 0xffffff                               // 000000005EC4: 8652FF52 00FFFFFF
	s_cmp_lt_u32 s82, s66                                      // 000000005ECC: BF0A4252
	s_cselect_b32 s20, s36, s60                                // 000000005ED0: 85143C24
	v_readlane_b32 s82, v3, 3                                  // 000000005ED4: D2890052 00010703
	s_and_b32 s82, s82, 0xffffff                               // 000000005EDC: 8652FF52 00FFFFFF
	s_cmp_lt_u32 s82, s66                                      // 000000005EE4: BF0A4252
	s_cselect_b32 s21, s36, s60                                // 000000005EE8: 85153C24
	s_mov_b64 exec, s[20:21]                                   // 000000005EEC: BEFE0114
	global_atomic_add_f32 v6, v51, s[8:9] offset:8             // 000000005EF0: DD348008 00083306
	global_atomic_add_f32 v6, v55, s[8:9] offset:264           // 000000005EF8: DD348108 00083706
	global_atomic_add_f32 v6, v59, s[8:9] offset:520           // 000000005F00: DD348208 00083B06
	global_atomic_add_f32 v6, v63, s[8:9] offset:776           // 000000005F08: DD348308 00083F06
	global_atomic_add_f32 v6, v67, s[8:9] offset:1032          // 000000005F10: DD348408 00084306
	global_atomic_add_f32 v6, v71, s[8:9] offset:1288          // 000000005F18: DD348508 00084706
	global_atomic_add_f32 v6, v75, s[8:9] offset:1544          // 000000005F20: DD348608 00084B06
	global_atomic_add_f32 v6, v79, s[8:9] offset:1800          // 000000005F28: DD348708 00084F06
	s_mov_b64 exec, s[36:37]                                   // 000000005F30: BEFE0124
	ds_write_b64 v20, v[80:81]                                 // 000000005F34: D89A0000 00005014
	ds_write_b64 v20, v[84:85] offset:2176                     // 000000005F3C: D89A0880 00005414
	ds_write_b64 v20, v[88:89] offset:4352                     // 000000005F44: D89A1100 00005814
	ds_write_b64 v20, v[92:93] offset:6528                     // 000000005F4C: D89A1980 00005C14
	ds_write_b64 v20, v[96:97] offset:8704                     // 000000005F54: D89A2200 00006014
	ds_write_b64 v20, v[100:101] offset:10880                  // 000000005F5C: D89A2A80 00006414
	ds_write_b64 v20, v[104:105] offset:13056                  // 000000005F64: D89A3300 00006814
	ds_write_b64 v20, v[108:109] offset:15232                  // 000000005F6C: D89A3B80 00006C14
	s_waitcnt lgkmcnt(0)                                       // 000000005F74: BF8CC07F
	s_barrier                                                  // 000000005F78: BF8A0000
	ds_read_b32 v80, v21                                       // 000000005F7C: D86C0000 50000015
	ds_read_b32 v81, v21 offset:64                             // 000000005F84: D86C0040 51000015
	ds_read_b32 v84, v21 offset:2176                           // 000000005F8C: D86C0880 54000015
	ds_read_b32 v85, v21 offset:2240                           // 000000005F94: D86C08C0 55000015
	ds_read_b32 v88, v21 offset:4352                           // 000000005F9C: D86C1100 58000015
	ds_read_b32 v89, v21 offset:4416                           // 000000005FA4: D86C1140 59000015
	ds_read_b32 v92, v21 offset:6528                           // 000000005FAC: D86C1980 5C000015
	ds_read_b32 v93, v21 offset:6592                           // 000000005FB4: D86C19C0 5D000015
	ds_read_b32 v96, v21 offset:8704                           // 000000005FBC: D86C2200 60000015
	ds_read_b32 v97, v21 offset:8768                           // 000000005FC4: D86C2240 61000015
	ds_read_b32 v100, v21 offset:10880                         // 000000005FCC: D86C2A80 64000015
	ds_read_b32 v101, v21 offset:10944                         // 000000005FD4: D86C2AC0 65000015
	ds_read_b32 v104, v21 offset:13056                         // 000000005FDC: D86C3300 68000015
	ds_read_b32 v105, v21 offset:13120                         // 000000005FE4: D86C3340 69000015
	ds_read_b32 v108, v21 offset:15232                         // 000000005FEC: D86C3B80 6C000015
	ds_read_b32 v109, v21 offset:15296                         // 000000005FF4: D86C3BC0 6D000015
	s_mul_i32 s60, s65, 4                                      // 000000005FFC: 923C8441
	s_add_u32 s8, s60, s8                                      // 000000006000: 8008083C
	s_addc_u32 s9, 0, s9                                       // 000000006004: 82090980
	s_waitcnt lgkmcnt(0)                                       // 000000006008: BF8CC07F
	v_mov_b32_e32 v7, 0                                        // 00000000600C: 7E0E0280
	s_mov_b64 exec, s[36:37]                                   // 000000006010: BEFE0124
	v_mov_b32_e32 v6, v35                                      // 000000006014: 7E0C0323
	s_mov_b64 s[60:61], 0                                      // 000000006018: BEBC0180
	v_readlane_b32 s82, v3, 0                                  // 00000000601C: D2890052 00010103
	s_and_b32 s82, s82, 0xffffff                               // 000000006024: 8652FF52 00FFFFFF
	s_cmp_lt_u32 s82, s66                                      // 00000000602C: BF0A4252
	s_cselect_b32 s20, s36, s60                                // 000000006030: 85143C24
	v_readlane_b32 s82, v3, 1                                  // 000000006034: D2890052 00010303
	s_and_b32 s82, s82, 0xffffff                               // 00000000603C: 8652FF52 00FFFFFF
	s_cmp_lt_u32 s82, s66                                      // 000000006044: BF0A4252
	s_cselect_b32 s21, s36, s60                                // 000000006048: 85153C24
	s_mov_b64 exec, s[20:21]                                   // 00000000604C: BEFE0114
	global_atomic_add_f32 v6, v80, s[8:9]                      // 000000006050: DD348000 00085006
	global_atomic_add_f32 v6, v84, s[8:9] offset:256           // 000000006058: DD348100 00085406
	global_atomic_add_f32 v6, v88, s[8:9] offset:512           // 000000006060: DD348200 00085806
	global_atomic_add_f32 v6, v92, s[8:9] offset:768           // 000000006068: DD348300 00085C06
	global_atomic_add_f32 v6, v96, s[8:9] offset:1024          // 000000006070: DD348400 00086006
	global_atomic_add_f32 v6, v100, s[8:9] offset:1280         // 000000006078: DD348500 00086406
	global_atomic_add_f32 v6, v104, s[8:9] offset:1536         // 000000006080: DD348600 00086806
	global_atomic_add_f32 v6, v108, s[8:9] offset:1792         // 000000006088: DD348700 00086C06
	s_mov_b64 exec, s[36:37]                                   // 000000006090: BEFE0124
	v_mov_b32_e32 v6, v36                                      // 000000006094: 7E0C0324
	s_mov_b64 s[60:61], 0                                      // 000000006098: BEBC0180
	v_readlane_b32 s82, v3, 2                                  // 00000000609C: D2890052 00010503
	s_and_b32 s82, s82, 0xffffff                               // 0000000060A4: 8652FF52 00FFFFFF
	s_cmp_lt_u32 s82, s66                                      // 0000000060AC: BF0A4252
	s_cselect_b32 s20, s36, s60                                // 0000000060B0: 85143C24
	v_readlane_b32 s82, v3, 3                                  // 0000000060B4: D2890052 00010703
	s_and_b32 s82, s82, 0xffffff                               // 0000000060BC: 8652FF52 00FFFFFF
	s_cmp_lt_u32 s82, s66                                      // 0000000060C4: BF0A4252
	s_cselect_b32 s21, s36, s60                                // 0000000060C8: 85153C24
	s_mov_b64 exec, s[20:21]                                   // 0000000060CC: BEFE0114
	global_atomic_add_f32 v6, v81, s[8:9]                      // 0000000060D0: DD348000 00085106
	global_atomic_add_f32 v6, v85, s[8:9] offset:256           // 0000000060D8: DD348100 00085506
	global_atomic_add_f32 v6, v89, s[8:9] offset:512           // 0000000060E0: DD348200 00085906
	global_atomic_add_f32 v6, v93, s[8:9] offset:768           // 0000000060E8: DD348300 00085D06
	global_atomic_add_f32 v6, v97, s[8:9] offset:1024          // 0000000060F0: DD348400 00086106
	global_atomic_add_f32 v6, v101, s[8:9] offset:1280         // 0000000060F8: DD348500 00086506
	global_atomic_add_f32 v6, v105, s[8:9] offset:1536         // 000000006100: DD348600 00086906
	global_atomic_add_f32 v6, v109, s[8:9] offset:1792         // 000000006108: DD348700 00086D06
	s_mov_b64 exec, s[36:37]                                   // 000000006110: BEFE0124
	ds_write_b64 v20, v[82:83]                                 // 000000006114: D89A0000 00005214
	ds_write_b64 v20, v[86:87] offset:2176                     // 00000000611C: D89A0880 00005614
	ds_write_b64 v20, v[90:91] offset:4352                     // 000000006124: D89A1100 00005A14
	ds_write_b64 v20, v[94:95] offset:6528                     // 00000000612C: D89A1980 00005E14
	ds_write_b64 v20, v[98:99] offset:8704                     // 000000006134: D89A2200 00006214
	ds_write_b64 v20, v[102:103] offset:10880                  // 00000000613C: D89A2A80 00006614
	ds_write_b64 v20, v[106:107] offset:13056                  // 000000006144: D89A3300 00006A14
	ds_write_b64 v20, v[110:111] offset:15232                  // 00000000614C: D89A3B80 00006E14
	s_waitcnt lgkmcnt(0)                                       // 000000006154: BF8CC07F
	s_barrier                                                  // 000000006158: BF8A0000
	ds_read_b32 v82, v21                                       // 00000000615C: D86C0000 52000015
	ds_read_b32 v83, v21 offset:64                             // 000000006164: D86C0040 53000015
	ds_read_b32 v86, v21 offset:2176                           // 00000000616C: D86C0880 56000015
	ds_read_b32 v87, v21 offset:2240                           // 000000006174: D86C08C0 57000015
	ds_read_b32 v90, v21 offset:4352                           // 00000000617C: D86C1100 5A000015
	ds_read_b32 v91, v21 offset:4416                           // 000000006184: D86C1140 5B000015
	ds_read_b32 v94, v21 offset:6528                           // 00000000618C: D86C1980 5E000015
	ds_read_b32 v95, v21 offset:6592                           // 000000006194: D86C19C0 5F000015
	ds_read_b32 v98, v21 offset:8704                           // 00000000619C: D86C2200 62000015
	ds_read_b32 v99, v21 offset:8768                           // 0000000061A4: D86C2240 63000015
	ds_read_b32 v102, v21 offset:10880                         // 0000000061AC: D86C2A80 66000015
	ds_read_b32 v103, v21 offset:10944                         // 0000000061B4: D86C2AC0 67000015
	ds_read_b32 v106, v21 offset:13056                         // 0000000061BC: D86C3300 6A000015
	ds_read_b32 v107, v21 offset:13120                         // 0000000061C4: D86C3340 6B000015
	ds_read_b32 v110, v21 offset:15232                         // 0000000061CC: D86C3B80 6E000015
	ds_read_b32 v111, v21 offset:15296                         // 0000000061D4: D86C3BC0 6F000015
	s_waitcnt lgkmcnt(0)                                       // 0000000061DC: BF8CC07F
	v_mov_b32_e32 v7, 0                                        // 0000000061E0: 7E0E0280
	s_mov_b64 exec, s[36:37]                                   // 0000000061E4: BEFE0124
	v_mov_b32_e32 v6, v35                                      // 0000000061E8: 7E0C0323
	s_mov_b64 s[60:61], 0                                      // 0000000061EC: BEBC0180
	v_readlane_b32 s82, v3, 0                                  // 0000000061F0: D2890052 00010103
	s_and_b32 s82, s82, 0xffffff                               // 0000000061F8: 8652FF52 00FFFFFF
	s_cmp_lt_u32 s82, s66                                      // 000000006200: BF0A4252
	s_cselect_b32 s20, s36, s60                                // 000000006204: 85143C24
	v_readlane_b32 s82, v3, 1                                  // 000000006208: D2890052 00010303
	s_and_b32 s82, s82, 0xffffff                               // 000000006210: 8652FF52 00FFFFFF
	s_cmp_lt_u32 s82, s66                                      // 000000006218: BF0A4252
	s_cselect_b32 s21, s36, s60                                // 00000000621C: 85153C24
	s_mov_b64 exec, s[20:21]                                   // 000000006220: BEFE0114
	global_atomic_add_f32 v6, v82, s[8:9] offset:8             // 000000006224: DD348008 00085206
	global_atomic_add_f32 v6, v86, s[8:9] offset:264           // 00000000622C: DD348108 00085606
	global_atomic_add_f32 v6, v90, s[8:9] offset:520           // 000000006234: DD348208 00085A06
	global_atomic_add_f32 v6, v94, s[8:9] offset:776           // 00000000623C: DD348308 00085E06
	global_atomic_add_f32 v6, v98, s[8:9] offset:1032          // 000000006244: DD348408 00086206
	global_atomic_add_f32 v6, v102, s[8:9] offset:1288         // 00000000624C: DD348508 00086606
	global_atomic_add_f32 v6, v106, s[8:9] offset:1544         // 000000006254: DD348608 00086A06
	global_atomic_add_f32 v6, v110, s[8:9] offset:1800         // 00000000625C: DD348708 00086E06
	s_mov_b64 exec, s[36:37]                                   // 000000006264: BEFE0124
	v_mov_b32_e32 v6, v36                                      // 000000006268: 7E0C0324
	s_mov_b64 s[60:61], 0                                      // 00000000626C: BEBC0180
	v_readlane_b32 s82, v3, 2                                  // 000000006270: D2890052 00010503
	s_and_b32 s82, s82, 0xffffff                               // 000000006278: 8652FF52 00FFFFFF
	s_cmp_lt_u32 s82, s66                                      // 000000006280: BF0A4252
	s_cselect_b32 s20, s36, s60                                // 000000006284: 85143C24
	v_readlane_b32 s82, v3, 3                                  // 000000006288: D2890052 00010703
	s_and_b32 s82, s82, 0xffffff                               // 000000006290: 8652FF52 00FFFFFF
	s_cmp_lt_u32 s82, s66                                      // 000000006298: BF0A4252
	s_cselect_b32 s21, s36, s60                                // 00000000629C: 85153C24
	s_mov_b64 exec, s[20:21]                                   // 0000000062A0: BEFE0114
	global_atomic_add_f32 v6, v83, s[8:9] offset:8             // 0000000062A4: DD348008 00085306
	global_atomic_add_f32 v6, v87, s[8:9] offset:264           // 0000000062AC: DD348108 00085706
	global_atomic_add_f32 v6, v91, s[8:9] offset:520           // 0000000062B4: DD348208 00085B06
	global_atomic_add_f32 v6, v95, s[8:9] offset:776           // 0000000062BC: DD348308 00085F06
	global_atomic_add_f32 v6, v99, s[8:9] offset:1032          // 0000000062C4: DD348408 00086306
	global_atomic_add_f32 v6, v103, s[8:9] offset:1288         // 0000000062CC: DD348508 00086706
	global_atomic_add_f32 v6, v107, s[8:9] offset:1544         // 0000000062D4: DD348608 00086B06
	global_atomic_add_f32 v6, v111, s[8:9] offset:1800         // 0000000062DC: DD348708 00086F06
	s_mov_b64 exec, s[36:37]                                   // 0000000062E4: BEFE0124
	s_branch label_1A88                                        // 0000000062E8: BF820C4A

00000000000062ec <label_0E3E>:
	s_waitcnt vmcnt(18) lgkmcnt(0)                             // 0000000062EC: BF8C4072
	v_mfma_i32_16x16x32_i8 v[48:51], a[16:17], a[0:1], v[48:51]// 0000000062F0: D3D70030 1CC20110
	buffer_load_dwordx4 a[144:147], v37, s[24:27], 0 offen     // 0000000062F8: E05C1000 80869025
	v_mfma_i32_16x16x32_i8 v[48:51], a[18:19], a[2:3], v[48:51]// 000000006300: D3D70030 1CC20512
	v_mfma_i32_16x16x32_i8 v[48:51], a[20:21], a[4:5], v[48:51]// 000000006308: D3D70030 1CC20914
	v_mfma_i32_16x16x32_i8 v[48:51], a[22:23], a[6:7], v[48:51]// 000000006310: D3D70030 1CC20D16
	v_mfma_i32_16x16x32_i8 v[52:55], a[24:25], a[0:1], v[52:55]// 000000006318: D3D70034 1CD20118
	buffer_load_dwordx4 a[148:151], v37, s[24:27], 0 offen offset:1024// 000000006320: E05C1400 80869425
	v_mfma_i32_16x16x32_i8 v[52:55], a[26:27], a[2:3], v[52:55]// 000000006328: D3D70034 1CD2051A
	v_mfma_i32_16x16x32_i8 v[52:55], a[28:29], a[4:5], v[52:55]// 000000006330: D3D70034 1CD2091C
	v_mfma_i32_16x16x32_i8 v[52:55], a[30:31], a[6:7], v[52:55]// 000000006338: D3D70034 1CD20D1E
	v_mfma_i32_16x16x32_i8 v[56:59], a[32:33], a[0:1], v[56:59]// 000000006340: D3D70038 1CE20120
	buffer_load_dwordx4 a[152:155], v38, s[24:27], 0 offen     // 000000006348: E05C1000 80869826
	v_mfma_i32_16x16x32_i8 v[56:59], a[34:35], a[2:3], v[56:59]// 000000006350: D3D70038 1CE20522
	v_mfma_i32_16x16x32_i8 v[56:59], a[36:37], a[4:5], v[56:59]// 000000006358: D3D70038 1CE20924
	v_mfma_i32_16x16x32_i8 v[56:59], a[38:39], a[6:7], v[56:59]// 000000006360: D3D70038 1CE20D26
	v_mfma_i32_16x16x32_i8 v[60:63], a[40:41], a[0:1], v[60:63]// 000000006368: D3D7003C 1CF20128
	buffer_load_dwordx4 a[156:159], v38, s[24:27], 0 offen offset:1024// 000000006370: E05C1400 80869C26
	v_mfma_i32_16x16x32_i8 v[60:63], a[42:43], a[2:3], v[60:63]// 000000006378: D3D7003C 1CF2052A
	v_mfma_i32_16x16x32_i8 v[60:63], a[44:45], a[4:5], v[60:63]// 000000006380: D3D7003C 1CF2092C
	v_mfma_i32_16x16x32_i8 v[60:63], a[46:47], a[6:7], v[60:63]// 000000006388: D3D7003C 1CF20D2E
	v_mfma_i32_16x16x32_i8 v[64:67], a[48:49], a[0:1], v[64:67]// 000000006390: D3D70040 1D020130
	buffer_load_dwordx4 a[160:163], v39, s[24:27], 0 offen     // 000000006398: E05C1000 8086A027
	v_mfma_i32_16x16x32_i8 v[64:67], a[50:51], a[2:3], v[64:67]// 0000000063A0: D3D70040 1D020532
	v_mfma_i32_16x16x32_i8 v[64:67], a[52:53], a[4:5], v[64:67]// 0000000063A8: D3D70040 1D020934
	v_mfma_i32_16x16x32_i8 v[64:67], a[54:55], a[6:7], v[64:67]// 0000000063B0: D3D70040 1D020D36
	v_mfma_i32_16x16x32_i8 v[68:71], a[56:57], a[0:1], v[68:71]// 0000000063B8: D3D70044 1D120138
	buffer_load_dwordx4 a[164:167], v39, s[24:27], 0 offen offset:1024// 0000000063C0: E05C1400 8086A427
	v_mfma_i32_16x16x32_i8 v[68:71], a[58:59], a[2:3], v[68:71]// 0000000063C8: D3D70044 1D12053A
	v_mfma_i32_16x16x32_i8 v[68:71], a[60:61], a[4:5], v[68:71]// 0000000063D0: D3D70044 1D12093C
	v_mfma_i32_16x16x32_i8 v[68:71], a[62:63], a[6:7], v[68:71]// 0000000063D8: D3D70044 1D120D3E
	v_mfma_i32_16x16x32_i8 v[72:75], a[64:65], a[0:1], v[72:75]// 0000000063E0: D3D70048 1D220140
	buffer_load_dwordx4 a[168:171], v40, s[24:27], 0 offen     // 0000000063E8: E05C1000 8086A828
	v_mfma_i32_16x16x32_i8 v[72:75], a[66:67], a[2:3], v[72:75]// 0000000063F0: D3D70048 1D220542
	v_mfma_i32_16x16x32_i8 v[72:75], a[68:69], a[4:5], v[72:75]// 0000000063F8: D3D70048 1D220944
	v_mfma_i32_16x16x32_i8 v[72:75], a[70:71], a[6:7], v[72:75]// 000000006400: D3D70048 1D220D46
	v_mfma_i32_16x16x32_i8 v[76:79], a[72:73], a[0:1], v[76:79]// 000000006408: D3D7004C 1D320148
	buffer_load_dwordx4 a[172:175], v40, s[24:27], 0 offen offset:1024// 000000006410: E05C1400 8086AC28
	v_mfma_i32_16x16x32_i8 v[76:79], a[74:75], a[2:3], v[76:79]// 000000006418: D3D7004C 1D32054A
	v_mfma_i32_16x16x32_i8 v[76:79], a[76:77], a[4:5], v[76:79]// 000000006420: D3D7004C 1D32094C
	v_mfma_i32_16x16x32_i8 v[76:79], a[78:79], a[6:7], v[76:79]// 000000006428: D3D7004C 1D320D4E
	buffer_load_dwordx4 a[176:179], v41, s[24:27], 0 offen     // 000000006430: E05C1000 8086B029
	buffer_load_dwordx4 a[180:183], v41, s[24:27], 0 offen offset:1024// 000000006438: E05C1400 8086B429
	buffer_load_dwordx4 a[184:187], v42, s[24:27], 0 offen     // 000000006440: E05C1000 8086B82A
	buffer_load_dwordx4 a[188:191], v42, s[24:27], 0 offen offset:1024// 000000006448: E05C1400 8086BC2A
	buffer_load_dwordx4 a[192:195], v43, s[24:27], 0 offen     // 000000006450: E05C1000 8086C02B
	buffer_load_dwordx4 a[196:199], v43, s[24:27], 0 offen offset:1024// 000000006458: E05C1400 8086C42B
	buffer_load_dwordx4 a[200:203], v44, s[24:27], 0 offen     // 000000006460: E05C1000 8086C82C
	buffer_load_dwordx4 a[204:207], v44, s[24:27], 0 offen offset:1024// 000000006468: E05C1400 8086CC2C
	buffer_load_dword v35, s[20:23], 0 offen lds               // 000000006470: E0511000 80050023
	s_add_u32 m0, 0x100, s50                                   // 000000006478: 807C32FF 00000100
	buffer_load_dword v36, s[20:23], 0 offen lds               // 000000006480: E0511000 80050024
	s_add_u32 m0, 0, s48                                       // 000000006488: 807C3080
	s_waitcnt vmcnt(18)                                        // 00000000648C: BF8C4F72
	s_barrier                                                  // 000000006490: BF8A0000
	v_mfma_i32_16x16x32_i8 v[80:83], a[80:81], a[0:1], v[80:83]// 000000006494: D3D70050 1D420150
	buffer_load_dwordx4 a[16:19], v37, s[84:87], 0 offen       // 00000000649C: E05C1000 80951025
	v_mfma_i32_16x16x32_i8 v[80:83], a[82:83], a[2:3], v[80:83]// 0000000064A4: D3D70050 1D420552
	v_mfma_i32_16x16x32_i8 v[80:83], a[84:85], a[4:5], v[80:83]// 0000000064AC: D3D70050 1D420954
	ds_read_b128 a[8:11], v2 offset:2176                       // 0000000064B4: DBFE0880 08000002
	ds_read_b128 a[12:15], v2 offset:2240                      // 0000000064BC: DBFE08C0 0C000002
	v_mfma_i32_16x16x32_i8 v[80:83], a[86:87], a[6:7], v[80:83]// 0000000064C4: D3D70050 1D420D56
	v_mfma_i32_16x16x32_i8 v[84:87], a[88:89], a[0:1], v[84:87]// 0000000064CC: D3D70054 1D520158
	buffer_load_dwordx4 a[20:23], v37, s[84:87], 0 offen offset:1024// 0000000064D4: E05C1400 80951425
	v_mfma_i32_16x16x32_i8 v[84:87], a[90:91], a[2:3], v[84:87]// 0000000064DC: D3D70054 1D52055A
	v_mfma_i32_16x16x32_i8 v[84:87], a[92:93], a[4:5], v[84:87]// 0000000064E4: D3D70054 1D52095C
	v_mfma_i32_16x16x32_i8 v[84:87], a[94:95], a[6:7], v[84:87]// 0000000064EC: D3D70054 1D520D5E
	v_mfma_i32_16x16x32_i8 v[88:91], a[96:97], a[0:1], v[88:91]// 0000000064F4: D3D70058 1D620160
	buffer_load_dwordx4 a[24:27], v38, s[84:87], 0 offen       // 0000000064FC: E05C1000 80951826
	v_mfma_i32_16x16x32_i8 v[88:91], a[98:99], a[2:3], v[88:91]// 000000006504: D3D70058 1D620562
	v_mfma_i32_16x16x32_i8 v[88:91], a[100:101], a[4:5], v[88:91]// 00000000650C: D3D70058 1D620964
	v_mfma_i32_16x16x32_i8 v[88:91], a[102:103], a[6:7], v[88:91]// 000000006514: D3D70058 1D620D66
	v_mfma_i32_16x16x32_i8 v[92:95], a[104:105], a[0:1], v[92:95]// 00000000651C: D3D7005C 1D720168
	buffer_load_dwordx4 a[28:31], v38, s[84:87], 0 offen offset:1024// 000000006524: E05C1400 80951C26
	v_mfma_i32_16x16x32_i8 v[92:95], a[106:107], a[2:3], v[92:95]// 00000000652C: D3D7005C 1D72056A
	v_mfma_i32_16x16x32_i8 v[92:95], a[108:109], a[4:5], v[92:95]// 000000006534: D3D7005C 1D72096C
	v_mfma_i32_16x16x32_i8 v[92:95], a[110:111], a[6:7], v[92:95]// 00000000653C: D3D7005C 1D720D6E
	v_mfma_i32_16x16x32_i8 v[96:99], a[112:113], a[0:1], v[96:99]// 000000006544: D3D70060 1D820170
	buffer_load_dwordx4 a[32:35], v39, s[84:87], 0 offen       // 00000000654C: E05C1000 80952027
	v_mfma_i32_16x16x32_i8 v[96:99], a[114:115], a[2:3], v[96:99]// 000000006554: D3D70060 1D820572
	v_mfma_i32_16x16x32_i8 v[96:99], a[116:117], a[4:5], v[96:99]// 00000000655C: D3D70060 1D820974
	v_mfma_i32_16x16x32_i8 v[96:99], a[118:119], a[6:7], v[96:99]// 000000006564: D3D70060 1D820D76
	v_mfma_i32_16x16x32_i8 v[100:103], a[120:121], a[0:1], v[100:103]// 00000000656C: D3D70064 1D920178
	buffer_load_dwordx4 a[36:39], v39, s[84:87], 0 offen offset:1024// 000000006574: E05C1400 80952427
	v_mfma_i32_16x16x32_i8 v[100:103], a[122:123], a[2:3], v[100:103]// 00000000657C: D3D70064 1D92057A
	v_mfma_i32_16x16x32_i8 v[100:103], a[124:125], a[4:5], v[100:103]// 000000006584: D3D70064 1D92097C
	v_mfma_i32_16x16x32_i8 v[100:103], a[126:127], a[6:7], v[100:103]// 00000000658C: D3D70064 1D920D7E
	v_mfma_i32_16x16x32_i8 v[104:107], a[128:129], a[0:1], v[104:107]// 000000006594: D3D70068 1DA20180
	buffer_load_dwordx4 a[40:43], v40, s[84:87], 0 offen       // 00000000659C: E05C1000 80952828
	s_add_u32 s60, 0x180, s80                                  // 0000000065A4: 803C50FF 00000180
	s_cmp_lt_u32 s60, s81                                      // 0000000065AC: BF0A513C
	s_cselect_b32 s57, s57, 0                                  // 0000000065B0: 85398039
	v_mfma_i32_16x16x32_i8 v[104:107], a[130:131], a[2:3], v[104:107]// 0000000065B4: D3D70068 1DA20582
	s_add_u32 s60, 0x100, s80                                  // 0000000065BC: 803C50FF 00000100
	s_cmp_lt_u32 s60, s81                                      // 0000000065C4: BF0A513C
	s_cselect_b32 s58, s58, 0                                  // 0000000065C8: 853A803A
	v_mfma_i32_16x16x32_i8 v[104:107], a[132:133], a[4:5], v[104:107]// 0000000065CC: D3D70068 1DA20984
	s_add_u32 s60, 0x100, s80                                  // 0000000065D4: 803C50FF 00000100
	s_cmp_lt_u32 s60, s81                                      // 0000000065DC: BF0A513C
	s_cselect_b32 s83, s83, 0                                  // 0000000065E0: 85538053
	v_mfma_i32_16x16x32_i8 v[104:107], a[134:135], a[6:7], v[104:107]// 0000000065E4: D3D70068 1DA20D86
	s_add_u32 s24, s58, s24                                    // 0000000065EC: 8018183A
	s_addc_u32 s25, 0, s25                                     // 0000000065F0: 82191980
	v_mfma_i32_16x16x32_i8 v[108:111], a[136:137], a[0:1], v[108:111]// 0000000065F4: D3D7006C 1DB20188
	buffer_load_dwordx4 a[44:47], v40, s[84:87], 0 offen offset:1024// 0000000065FC: E05C1400 80952C28
	s_add_u32 s20, s57, s20                                    // 000000006604: 80141439
	s_addc_u32 s21, 0, s21                                     // 000000006608: 82151580
	v_mfma_i32_16x16x32_i8 v[108:111], a[138:139], a[2:3], v[108:111]// 00000000660C: D3D7006C 1DB2058A
	v_mfma_i32_16x16x32_i8 v[108:111], a[140:141], a[4:5], v[108:111]// 000000006614: D3D7006C 1DB2098C
	v_mfma_i32_16x16x32_i8 v[108:111], a[142:143], a[6:7], v[108:111]// 00000000661C: D3D7006C 1DB20D8E
	buffer_load_dwordx4 a[48:51], v41, s[84:87], 0 offen       // 000000006624: E05C1000 80953029
	buffer_load_dwordx4 a[52:55], v41, s[84:87], 0 offen offset:1024// 00000000662C: E05C1400 80953429
	buffer_load_dwordx4 a[56:59], v42, s[84:87], 0 offen       // 000000006634: E05C1000 8095382A
	buffer_load_dwordx4 a[60:63], v42, s[84:87], 0 offen offset:1024// 00000000663C: E05C1400 80953C2A
	buffer_load_dwordx4 a[64:67], v43, s[84:87], 0 offen       // 000000006644: E05C1000 8095402B
	buffer_load_dwordx4 a[68:71], v43, s[84:87], 0 offen offset:1024// 00000000664C: E05C1400 8095442B
	buffer_load_dwordx4 a[72:75], v44, s[84:87], 0 offen       // 000000006654: E05C1000 8095482C
	buffer_load_dwordx4 a[76:79], v44, s[84:87], 0 offen offset:1024// 00000000665C: E05C1400 80954C2C
	s_add_u32 s84, s83, s84                                    // 000000006664: 80545453
	s_addc_u32 s85, 0, s85                                     // 000000006668: 82555580
	s_addk_i32 s80, 0x80                                       // 00000000666C: B7500080
	s_cmp_lt_i32 s80, s81                                      // 000000006670: BF045150
	s_cbranch_scc0 label_1391                                  // 000000006674: BF840470
	s_waitcnt vmcnt(18) lgkmcnt(0)                             // 000000006678: BF8C4072
	v_mfma_i32_16x16x32_i8 v[48:51], a[144:145], a[8:9], v[48:51]// 00000000667C: D3D70030 1CC21190
	buffer_load_dwordx4 a[80:83], v37, s[24:27], 0 offen       // 000000006684: E05C1000 80865025
	v_mfma_i32_16x16x32_i8 v[48:51], a[146:147], a[10:11], v[48:51]// 00000000668C: D3D70030 1CC21592
	v_mfma_i32_16x16x32_i8 v[48:51], a[148:149], a[12:13], v[48:51]// 000000006694: D3D70030 1CC21994
	v_mfma_i32_16x16x32_i8 v[48:51], a[150:151], a[14:15], v[48:51]// 00000000669C: D3D70030 1CC21D96
	v_mfma_i32_16x16x32_i8 v[52:55], a[152:153], a[8:9], v[52:55]// 0000000066A4: D3D70034 1CD21198
	buffer_load_dwordx4 a[84:87], v37, s[24:27], 0 offen offset:1024// 0000000066AC: E05C1400 80865425
	v_mfma_i32_16x16x32_i8 v[52:55], a[154:155], a[10:11], v[52:55]// 0000000066B4: D3D70034 1CD2159A
	v_mfma_i32_16x16x32_i8 v[52:55], a[156:157], a[12:13], v[52:55]// 0000000066BC: D3D70034 1CD2199C
	v_mfma_i32_16x16x32_i8 v[52:55], a[158:159], a[14:15], v[52:55]// 0000000066C4: D3D70034 1CD21D9E
	v_mfma_i32_16x16x32_i8 v[56:59], a[160:161], a[8:9], v[56:59]// 0000000066CC: D3D70038 1CE211A0
	buffer_load_dwordx4 a[88:91], v38, s[24:27], 0 offen       // 0000000066D4: E05C1000 80865826
	v_mfma_i32_16x16x32_i8 v[56:59], a[162:163], a[10:11], v[56:59]// 0000000066DC: D3D70038 1CE215A2
	v_mfma_i32_16x16x32_i8 v[56:59], a[164:165], a[12:13], v[56:59]// 0000000066E4: D3D70038 1CE219A4
	v_mfma_i32_16x16x32_i8 v[56:59], a[166:167], a[14:15], v[56:59]// 0000000066EC: D3D70038 1CE21DA6
	v_mfma_i32_16x16x32_i8 v[60:63], a[168:169], a[8:9], v[60:63]// 0000000066F4: D3D7003C 1CF211A8
	buffer_load_dwordx4 a[92:95], v38, s[24:27], 0 offen offset:1024// 0000000066FC: E05C1400 80865C26
	v_mfma_i32_16x16x32_i8 v[60:63], a[170:171], a[10:11], v[60:63]// 000000006704: D3D7003C 1CF215AA
	v_mfma_i32_16x16x32_i8 v[60:63], a[172:173], a[12:13], v[60:63]// 00000000670C: D3D7003C 1CF219AC
	v_mfma_i32_16x16x32_i8 v[60:63], a[174:175], a[14:15], v[60:63]// 000000006714: D3D7003C 1CF21DAE
	v_mfma_i32_16x16x32_i8 v[64:67], a[176:177], a[8:9], v[64:67]// 00000000671C: D3D70040 1D0211B0
	buffer_load_dwordx4 a[96:99], v39, s[24:27], 0 offen       // 000000006724: E05C1000 80866027
	v_mfma_i32_16x16x32_i8 v[64:67], a[178:179], a[10:11], v[64:67]// 00000000672C: D3D70040 1D0215B2
	v_mfma_i32_16x16x32_i8 v[64:67], a[180:181], a[12:13], v[64:67]// 000000006734: D3D70040 1D0219B4
	v_mfma_i32_16x16x32_i8 v[64:67], a[182:183], a[14:15], v[64:67]// 00000000673C: D3D70040 1D021DB6
	v_mfma_i32_16x16x32_i8 v[68:71], a[184:185], a[8:9], v[68:71]// 000000006744: D3D70044 1D1211B8
	buffer_load_dwordx4 a[100:103], v39, s[24:27], 0 offen offset:1024// 00000000674C: E05C1400 80866427
	v_mfma_i32_16x16x32_i8 v[68:71], a[186:187], a[10:11], v[68:71]// 000000006754: D3D70044 1D1215BA
	v_mfma_i32_16x16x32_i8 v[68:71], a[188:189], a[12:13], v[68:71]// 00000000675C: D3D70044 1D1219BC
	v_mfma_i32_16x16x32_i8 v[68:71], a[190:191], a[14:15], v[68:71]// 000000006764: D3D70044 1D121DBE
	v_mfma_i32_16x16x32_i8 v[72:75], a[192:193], a[8:9], v[72:75]// 00000000676C: D3D70048 1D2211C0
	buffer_load_dwordx4 a[104:107], v40, s[24:27], 0 offen     // 000000006774: E05C1000 80866828
	v_mfma_i32_16x16x32_i8 v[72:75], a[194:195], a[10:11], v[72:75]// 00000000677C: D3D70048 1D2215C2
	v_mfma_i32_16x16x32_i8 v[72:75], a[196:197], a[12:13], v[72:75]// 000000006784: D3D70048 1D2219C4
	v_mfma_i32_16x16x32_i8 v[72:75], a[198:199], a[14:15], v[72:75]// 00000000678C: D3D70048 1D221DC6
	v_mfma_i32_16x16x32_i8 v[76:79], a[200:201], a[8:9], v[76:79]// 000000006794: D3D7004C 1D3211C8
	buffer_load_dwordx4 a[108:111], v40, s[24:27], 0 offen offset:1024// 00000000679C: E05C1400 80866C28
	v_mfma_i32_16x16x32_i8 v[76:79], a[202:203], a[10:11], v[76:79]// 0000000067A4: D3D7004C 1D3215CA
	v_mfma_i32_16x16x32_i8 v[76:79], a[204:205], a[12:13], v[76:79]// 0000000067AC: D3D7004C 1D3219CC
	v_mfma_i32_16x16x32_i8 v[76:79], a[206:207], a[14:15], v[76:79]// 0000000067B4: D3D7004C 1D321DCE
	buffer_load_dwordx4 a[112:115], v41, s[24:27], 0 offen     // 0000000067BC: E05C1000 80867029
	buffer_load_dwordx4 a[116:119], v41, s[24:27], 0 offen offset:1024// 0000000067C4: E05C1400 80867429
	buffer_load_dwordx4 a[120:123], v42, s[24:27], 0 offen     // 0000000067CC: E05C1000 8086782A
	buffer_load_dwordx4 a[124:127], v42, s[24:27], 0 offen offset:1024// 0000000067D4: E05C1400 80867C2A
	buffer_load_dwordx4 a[128:131], v43, s[24:27], 0 offen     // 0000000067DC: E05C1000 8086802B
	buffer_load_dwordx4 a[132:135], v43, s[24:27], 0 offen offset:1024// 0000000067E4: E05C1400 8086842B
	buffer_load_dwordx4 a[136:139], v44, s[24:27], 0 offen     // 0000000067EC: E05C1000 8086882C
	buffer_load_dwordx4 a[140:143], v44, s[24:27], 0 offen offset:1024// 0000000067F4: E05C1400 80868C2C
	buffer_load_dword v35, s[20:23], 0 offen lds               // 0000000067FC: E0511000 80050023
	s_add_u32 m0, 0x100, s48                                   // 000000006804: 807C30FF 00000100
	buffer_load_dword v36, s[20:23], 0 offen lds               // 00000000680C: E0511000 80050024
	s_add_u32 m0, 0, s49                                       // 000000006814: 807C3180
	s_waitcnt vmcnt(18)                                        // 000000006818: BF8C4F72
	s_barrier                                                  // 00000000681C: BF8A0000
	v_mfma_i32_16x16x32_i8 v[80:83], a[16:17], a[8:9], v[80:83]// 000000006820: D3D70050 1D421110
	buffer_load_dwordx4 a[144:147], v37, s[84:87], 0 offen     // 000000006828: E05C1000 80959025
	v_mfma_i32_16x16x32_i8 v[80:83], a[18:19], a[10:11], v[80:83]// 000000006830: D3D70050 1D421512
	v_mfma_i32_16x16x32_i8 v[80:83], a[20:21], a[12:13], v[80:83]// 000000006838: D3D70050 1D421914
	ds_read_b128 a[0:3], v2 offset:4352                        // 000000006840: DBFE1100 00000002
	ds_read_b128 a[4:7], v2 offset:4416                        // 000000006848: DBFE1140 04000002
	v_mfma_i32_16x16x32_i8 v[80:83], a[22:23], a[14:15], v[80:83]// 000000006850: D3D70050 1D421D16
	v_mfma_i32_16x16x32_i8 v[84:87], a[24:25], a[8:9], v[84:87]// 000000006858: D3D70054 1D521118
	buffer_load_dwordx4 a[148:151], v37, s[84:87], 0 offen offset:1024// 000000006860: E05C1400 80959425
	v_mfma_i32_16x16x32_i8 v[84:87], a[26:27], a[10:11], v[84:87]// 000000006868: D3D70054 1D52151A
	v_mfma_i32_16x16x32_i8 v[84:87], a[28:29], a[12:13], v[84:87]// 000000006870: D3D70054 1D52191C
	v_mfma_i32_16x16x32_i8 v[84:87], a[30:31], a[14:15], v[84:87]// 000000006878: D3D70054 1D521D1E
	v_mfma_i32_16x16x32_i8 v[88:91], a[32:33], a[8:9], v[88:91]// 000000006880: D3D70058 1D621120
	buffer_load_dwordx4 a[152:155], v38, s[84:87], 0 offen     // 000000006888: E05C1000 80959826
	v_mfma_i32_16x16x32_i8 v[88:91], a[34:35], a[10:11], v[88:91]// 000000006890: D3D70058 1D621522
	v_mfma_i32_16x16x32_i8 v[88:91], a[36:37], a[12:13], v[88:91]// 000000006898: D3D70058 1D621924
	v_mfma_i32_16x16x32_i8 v[88:91], a[38:39], a[14:15], v[88:91]// 0000000068A0: D3D70058 1D621D26
	v_mfma_i32_16x16x32_i8 v[92:95], a[40:41], a[8:9], v[92:95]// 0000000068A8: D3D7005C 1D721128
	buffer_load_dwordx4 a[156:159], v38, s[84:87], 0 offen offset:1024// 0000000068B0: E05C1400 80959C26
	v_mfma_i32_16x16x32_i8 v[92:95], a[42:43], a[10:11], v[92:95]// 0000000068B8: D3D7005C 1D72152A
	v_mfma_i32_16x16x32_i8 v[92:95], a[44:45], a[12:13], v[92:95]// 0000000068C0: D3D7005C 1D72192C
	v_mfma_i32_16x16x32_i8 v[92:95], a[46:47], a[14:15], v[92:95]// 0000000068C8: D3D7005C 1D721D2E
	v_mfma_i32_16x16x32_i8 v[96:99], a[48:49], a[8:9], v[96:99]// 0000000068D0: D3D70060 1D821130
	buffer_load_dwordx4 a[160:163], v39, s[84:87], 0 offen     // 0000000068D8: E05C1000 8095A027
	v_mfma_i32_16x16x32_i8 v[96:99], a[50:51], a[10:11], v[96:99]// 0000000068E0: D3D70060 1D821532
	v_mfma_i32_16x16x32_i8 v[96:99], a[52:53], a[12:13], v[96:99]// 0000000068E8: D3D70060 1D821934
	v_mfma_i32_16x16x32_i8 v[96:99], a[54:55], a[14:15], v[96:99]// 0000000068F0: D3D70060 1D821D36
	v_mfma_i32_16x16x32_i8 v[100:103], a[56:57], a[8:9], v[100:103]// 0000000068F8: D3D70064 1D921138
	buffer_load_dwordx4 a[164:167], v39, s[84:87], 0 offen offset:1024// 000000006900: E05C1400 8095A427
	v_mfma_i32_16x16x32_i8 v[100:103], a[58:59], a[10:11], v[100:103]// 000000006908: D3D70064 1D92153A
	v_mfma_i32_16x16x32_i8 v[100:103], a[60:61], a[12:13], v[100:103]// 000000006910: D3D70064 1D92193C
	v_mfma_i32_16x16x32_i8 v[100:103], a[62:63], a[14:15], v[100:103]// 000000006918: D3D70064 1D921D3E
	v_mfma_i32_16x16x32_i8 v[104:107], a[64:65], a[8:9], v[104:107]// 000000006920: D3D70068 1DA21140
	buffer_load_dwordx4 a[168:171], v40, s[84:87], 0 offen     // 000000006928: E05C1000 8095A828
	s_add_u32 s60, 0x180, s80                                  // 000000006930: 803C50FF 00000180
	s_cmp_lt_u32 s60, s81                                      // 000000006938: BF0A513C
	s_cselect_b32 s57, s57, 0                                  // 00000000693C: 85398039
	v_mfma_i32_16x16x32_i8 v[104:107], a[66:67], a[10:11], v[104:107]// 000000006940: D3D70068 1DA21542
	s_add_u32 s60, 0x100, s80                                  // 000000006948: 803C50FF 00000100
	s_cmp_lt_u32 s60, s81                                      // 000000006950: BF0A513C
	s_cselect_b32 s58, s58, 0                                  // 000000006954: 853A803A
	v_mfma_i32_16x16x32_i8 v[104:107], a[68:69], a[12:13], v[104:107]// 000000006958: D3D70068 1DA21944
	s_add_u32 s60, 0x100, s80                                  // 000000006960: 803C50FF 00000100
	s_cmp_lt_u32 s60, s81                                      // 000000006968: BF0A513C
	s_cselect_b32 s83, s83, 0                                  // 00000000696C: 85538053
	v_mfma_i32_16x16x32_i8 v[104:107], a[70:71], a[14:15], v[104:107]// 000000006970: D3D70068 1DA21D46
	s_add_u32 s24, s58, s24                                    // 000000006978: 8018183A
	s_addc_u32 s25, 0, s25                                     // 00000000697C: 82191980
	v_mfma_i32_16x16x32_i8 v[108:111], a[72:73], a[8:9], v[108:111]// 000000006980: D3D7006C 1DB21148
	buffer_load_dwordx4 a[172:175], v40, s[84:87], 0 offen offset:1024// 000000006988: E05C1400 8095AC28
	s_add_u32 s20, s57, s20                                    // 000000006990: 80141439
	s_addc_u32 s21, 0, s21                                     // 000000006994: 82151580
	v_mfma_i32_16x16x32_i8 v[108:111], a[74:75], a[10:11], v[108:111]// 000000006998: D3D7006C 1DB2154A
	v_mfma_i32_16x16x32_i8 v[108:111], a[76:77], a[12:13], v[108:111]// 0000000069A0: D3D7006C 1DB2194C
	v_mfma_i32_16x16x32_i8 v[108:111], a[78:79], a[14:15], v[108:111]// 0000000069A8: D3D7006C 1DB21D4E
	buffer_load_dwordx4 a[176:179], v41, s[84:87], 0 offen     // 0000000069B0: E05C1000 8095B029
	buffer_load_dwordx4 a[180:183], v41, s[84:87], 0 offen offset:1024// 0000000069B8: E05C1400 8095B429
	buffer_load_dwordx4 a[184:187], v42, s[84:87], 0 offen     // 0000000069C0: E05C1000 8095B82A
	buffer_load_dwordx4 a[188:191], v42, s[84:87], 0 offen offset:1024// 0000000069C8: E05C1400 8095BC2A
	buffer_load_dwordx4 a[192:195], v43, s[84:87], 0 offen     // 0000000069D0: E05C1000 8095C02B
	buffer_load_dwordx4 a[196:199], v43, s[84:87], 0 offen offset:1024// 0000000069D8: E05C1400 8095C42B
	buffer_load_dwordx4 a[200:203], v44, s[84:87], 0 offen     // 0000000069E0: E05C1000 8095C82C
	buffer_load_dwordx4 a[204:207], v44, s[84:87], 0 offen offset:1024// 0000000069E8: E05C1400 8095CC2C
	s_add_u32 s84, s83, s84                                    // 0000000069F0: 80545453
	s_addc_u32 s85, 0, s85                                     // 0000000069F4: 82555580
	s_addk_i32 s80, 0x80                                       // 0000000069F8: B7500080
	s_cmp_lt_i32 s80, s81                                      // 0000000069FC: BF045150
	s_cbranch_scc0 label_1391                                  // 000000006A00: BF84038D
	s_waitcnt vmcnt(18) lgkmcnt(0)                             // 000000006A04: BF8C4072
	v_mfma_i32_16x16x32_i8 v[48:51], a[80:81], a[0:1], v[48:51]// 000000006A08: D3D70030 1CC20150
	buffer_load_dwordx4 a[16:19], v37, s[24:27], 0 offen       // 000000006A10: E05C1000 80861025
	v_mfma_i32_16x16x32_i8 v[48:51], a[82:83], a[2:3], v[48:51]// 000000006A18: D3D70030 1CC20552
	v_mfma_i32_16x16x32_i8 v[48:51], a[84:85], a[4:5], v[48:51]// 000000006A20: D3D70030 1CC20954
	v_mfma_i32_16x16x32_i8 v[48:51], a[86:87], a[6:7], v[48:51]// 000000006A28: D3D70030 1CC20D56
	v_mfma_i32_16x16x32_i8 v[52:55], a[88:89], a[0:1], v[52:55]// 000000006A30: D3D70034 1CD20158
	buffer_load_dwordx4 a[20:23], v37, s[24:27], 0 offen offset:1024// 000000006A38: E05C1400 80861425
	v_mfma_i32_16x16x32_i8 v[52:55], a[90:91], a[2:3], v[52:55]// 000000006A40: D3D70034 1CD2055A
	v_mfma_i32_16x16x32_i8 v[52:55], a[92:93], a[4:5], v[52:55]// 000000006A48: D3D70034 1CD2095C
	v_mfma_i32_16x16x32_i8 v[52:55], a[94:95], a[6:7], v[52:55]// 000000006A50: D3D70034 1CD20D5E
	v_mfma_i32_16x16x32_i8 v[56:59], a[96:97], a[0:1], v[56:59]// 000000006A58: D3D70038 1CE20160
	buffer_load_dwordx4 a[24:27], v38, s[24:27], 0 offen       // 000000006A60: E05C1000 80861826
	v_mfma_i32_16x16x32_i8 v[56:59], a[98:99], a[2:3], v[56:59]// 000000006A68: D3D70038 1CE20562
	v_mfma_i32_16x16x32_i8 v[56:59], a[100:101], a[4:5], v[56:59]// 000000006A70: D3D70038 1CE20964
	v_mfma_i32_16x16x32_i8 v[56:59], a[102:103], a[6:7], v[56:59]// 000000006A78: D3D70038 1CE20D66
	v_mfma_i32_16x16x32_i8 v[60:63], a[104:105], a[0:1], v[60:63]// 000000006A80: D3D7003C 1CF20168
	buffer_load_dwordx4 a[28:31], v38, s[24:27], 0 offen offset:1024// 000000006A88: E05C1400 80861C26
	v_mfma_i32_16x16x32_i8 v[60:63], a[106:107], a[2:3], v[60:63]// 000000006A90: D3D7003C 1CF2056A
	v_mfma_i32_16x16x32_i8 v[60:63], a[108:109], a[4:5], v[60:63]// 000000006A98: D3D7003C 1CF2096C
	v_mfma_i32_16x16x32_i8 v[60:63], a[110:111], a[6:7], v[60:63]// 000000006AA0: D3D7003C 1CF20D6E
	v_mfma_i32_16x16x32_i8 v[64:67], a[112:113], a[0:1], v[64:67]// 000000006AA8: D3D70040 1D020170
	buffer_load_dwordx4 a[32:35], v39, s[24:27], 0 offen       // 000000006AB0: E05C1000 80862027
	v_mfma_i32_16x16x32_i8 v[64:67], a[114:115], a[2:3], v[64:67]// 000000006AB8: D3D70040 1D020572
	v_mfma_i32_16x16x32_i8 v[64:67], a[116:117], a[4:5], v[64:67]// 000000006AC0: D3D70040 1D020974
	v_mfma_i32_16x16x32_i8 v[64:67], a[118:119], a[6:7], v[64:67]// 000000006AC8: D3D70040 1D020D76
	v_mfma_i32_16x16x32_i8 v[68:71], a[120:121], a[0:1], v[68:71]// 000000006AD0: D3D70044 1D120178
	buffer_load_dwordx4 a[36:39], v39, s[24:27], 0 offen offset:1024// 000000006AD8: E05C1400 80862427
	v_mfma_i32_16x16x32_i8 v[68:71], a[122:123], a[2:3], v[68:71]// 000000006AE0: D3D70044 1D12057A
	v_mfma_i32_16x16x32_i8 v[68:71], a[124:125], a[4:5], v[68:71]// 000000006AE8: D3D70044 1D12097C
	v_mfma_i32_16x16x32_i8 v[68:71], a[126:127], a[6:7], v[68:71]// 000000006AF0: D3D70044 1D120D7E
	v_mfma_i32_16x16x32_i8 v[72:75], a[128:129], a[0:1], v[72:75]// 000000006AF8: D3D70048 1D220180
	buffer_load_dwordx4 a[40:43], v40, s[24:27], 0 offen       // 000000006B00: E05C1000 80862828
	v_mfma_i32_16x16x32_i8 v[72:75], a[130:131], a[2:3], v[72:75]// 000000006B08: D3D70048 1D220582
	v_mfma_i32_16x16x32_i8 v[72:75], a[132:133], a[4:5], v[72:75]// 000000006B10: D3D70048 1D220984
	v_mfma_i32_16x16x32_i8 v[72:75], a[134:135], a[6:7], v[72:75]// 000000006B18: D3D70048 1D220D86
	v_mfma_i32_16x16x32_i8 v[76:79], a[136:137], a[0:1], v[76:79]// 000000006B20: D3D7004C 1D320188
	buffer_load_dwordx4 a[44:47], v40, s[24:27], 0 offen offset:1024// 000000006B28: E05C1400 80862C28
	v_mfma_i32_16x16x32_i8 v[76:79], a[138:139], a[2:3], v[76:79]// 000000006B30: D3D7004C 1D32058A
	v_mfma_i32_16x16x32_i8 v[76:79], a[140:141], a[4:5], v[76:79]// 000000006B38: D3D7004C 1D32098C
	v_mfma_i32_16x16x32_i8 v[76:79], a[142:143], a[6:7], v[76:79]// 000000006B40: D3D7004C 1D320D8E
	buffer_load_dwordx4 a[48:51], v41, s[24:27], 0 offen       // 000000006B48: E05C1000 80863029
	buffer_load_dwordx4 a[52:55], v41, s[24:27], 0 offen offset:1024// 000000006B50: E05C1400 80863429
	buffer_load_dwordx4 a[56:59], v42, s[24:27], 0 offen       // 000000006B58: E05C1000 8086382A
	buffer_load_dwordx4 a[60:63], v42, s[24:27], 0 offen offset:1024// 000000006B60: E05C1400 80863C2A
	buffer_load_dwordx4 a[64:67], v43, s[24:27], 0 offen       // 000000006B68: E05C1000 8086402B
	buffer_load_dwordx4 a[68:71], v43, s[24:27], 0 offen offset:1024// 000000006B70: E05C1400 8086442B
	buffer_load_dwordx4 a[72:75], v44, s[24:27], 0 offen       // 000000006B78: E05C1000 8086482C
	buffer_load_dwordx4 a[76:79], v44, s[24:27], 0 offen offset:1024// 000000006B80: E05C1400 80864C2C
	buffer_load_dword v35, s[20:23], 0 offen lds               // 000000006B88: E0511000 80050023
	s_add_u32 m0, 0x100, s49                                   // 000000006B90: 807C31FF 00000100
	buffer_load_dword v36, s[20:23], 0 offen lds               // 000000006B98: E0511000 80050024
	s_add_u32 m0, 0, s50                                       // 000000006BA0: 807C3280
	s_waitcnt vmcnt(18)                                        // 000000006BA4: BF8C4F72
	s_barrier                                                  // 000000006BA8: BF8A0000
	v_mfma_i32_16x16x32_i8 v[80:83], a[144:145], a[0:1], v[80:83]// 000000006BAC: D3D70050 1D420190
	buffer_load_dwordx4 a[80:83], v37, s[84:87], 0 offen       // 000000006BB4: E05C1000 80955025
	v_mfma_i32_16x16x32_i8 v[80:83], a[146:147], a[2:3], v[80:83]// 000000006BBC: D3D70050 1D420592
	v_mfma_i32_16x16x32_i8 v[80:83], a[148:149], a[4:5], v[80:83]// 000000006BC4: D3D70050 1D420994
	ds_read_b128 a[8:11], v2                                   // 000000006BCC: DBFE0000 08000002
	ds_read_b128 a[12:15], v2 offset:64                        // 000000006BD4: DBFE0040 0C000002
	v_mfma_i32_16x16x32_i8 v[80:83], a[150:151], a[6:7], v[80:83]// 000000006BDC: D3D70050 1D420D96
	v_mfma_i32_16x16x32_i8 v[84:87], a[152:153], a[0:1], v[84:87]// 000000006BE4: D3D70054 1D520198
	buffer_load_dwordx4 a[84:87], v37, s[84:87], 0 offen offset:1024// 000000006BEC: E05C1400 80955425
	v_mfma_i32_16x16x32_i8 v[84:87], a[154:155], a[2:3], v[84:87]// 000000006BF4: D3D70054 1D52059A
	v_mfma_i32_16x16x32_i8 v[84:87], a[156:157], a[4:5], v[84:87]// 000000006BFC: D3D70054 1D52099C
	v_mfma_i32_16x16x32_i8 v[84:87], a[158:159], a[6:7], v[84:87]// 000000006C04: D3D70054 1D520D9E
	v_mfma_i32_16x16x32_i8 v[88:91], a[160:161], a[0:1], v[88:91]// 000000006C0C: D3D70058 1D6201A0
	buffer_load_dwordx4 a[88:91], v38, s[84:87], 0 offen       // 000000006C14: E05C1000 80955826
	v_mfma_i32_16x16x32_i8 v[88:91], a[162:163], a[2:3], v[88:91]// 000000006C1C: D3D70058 1D6205A2
	v_mfma_i32_16x16x32_i8 v[88:91], a[164:165], a[4:5], v[88:91]// 000000006C24: D3D70058 1D6209A4
	v_mfma_i32_16x16x32_i8 v[88:91], a[166:167], a[6:7], v[88:91]// 000000006C2C: D3D70058 1D620DA6
	v_mfma_i32_16x16x32_i8 v[92:95], a[168:169], a[0:1], v[92:95]// 000000006C34: D3D7005C 1D7201A8
	buffer_load_dwordx4 a[92:95], v38, s[84:87], 0 offen offset:1024// 000000006C3C: E05C1400 80955C26
	v_mfma_i32_16x16x32_i8 v[92:95], a[170:171], a[2:3], v[92:95]// 000000006C44: D3D7005C 1D7205AA
	v_mfma_i32_16x16x32_i8 v[92:95], a[172:173], a[4:5], v[92:95]// 000000006C4C: D3D7005C 1D7209AC
	v_mfma_i32_16x16x32_i8 v[92:95], a[174:175], a[6:7], v[92:95]// 000000006C54: D3D7005C 1D720DAE
	v_mfma_i32_16x16x32_i8 v[96:99], a[176:177], a[0:1], v[96:99]// 000000006C5C: D3D70060 1D8201B0
	buffer_load_dwordx4 a[96:99], v39, s[84:87], 0 offen       // 000000006C64: E05C1000 80956027
	v_mfma_i32_16x16x32_i8 v[96:99], a[178:179], a[2:3], v[96:99]// 000000006C6C: D3D70060 1D8205B2
	v_mfma_i32_16x16x32_i8 v[96:99], a[180:181], a[4:5], v[96:99]// 000000006C74: D3D70060 1D8209B4
	v_mfma_i32_16x16x32_i8 v[96:99], a[182:183], a[6:7], v[96:99]// 000000006C7C: D3D70060 1D820DB6
	v_mfma_i32_16x16x32_i8 v[100:103], a[184:185], a[0:1], v[100:103]// 000000006C84: D3D70064 1D9201B8
	buffer_load_dwordx4 a[100:103], v39, s[84:87], 0 offen offset:1024// 000000006C8C: E05C1400 80956427
	v_mfma_i32_16x16x32_i8 v[100:103], a[186:187], a[2:3], v[100:103]// 000000006C94: D3D70064 1D9205BA
	v_mfma_i32_16x16x32_i8 v[100:103], a[188:189], a[4:5], v[100:103]// 000000006C9C: D3D70064 1D9209BC
	v_mfma_i32_16x16x32_i8 v[100:103], a[190:191], a[6:7], v[100:103]// 000000006CA4: D3D70064 1D920DBE
	v_mfma_i32_16x16x32_i8 v[104:107], a[192:193], a[0:1], v[104:107]// 000000006CAC: D3D70068 1DA201C0
	buffer_load_dwordx4 a[104:107], v40, s[84:87], 0 offen     // 000000006CB4: E05C1000 80956828
	s_add_u32 s60, 0x180, s80                                  // 000000006CBC: 803C50FF 00000180
	s_cmp_lt_u32 s60, s81                                      // 000000006CC4: BF0A513C
	s_cselect_b32 s57, s57, 0                                  // 000000006CC8: 85398039
	v_mfma_i32_16x16x32_i8 v[104:107], a[194:195], a[2:3], v[104:107]// 000000006CCC: D3D70068 1DA205C2
	s_add_u32 s60, 0x100, s80                                  // 000000006CD4: 803C50FF 00000100
	s_cmp_lt_u32 s60, s81                                      // 000000006CDC: BF0A513C
	s_cselect_b32 s58, s58, 0                                  // 000000006CE0: 853A803A
	v_mfma_i32_16x16x32_i8 v[104:107], a[196:197], a[4:5], v[104:107]// 000000006CE4: D3D70068 1DA209C4
	s_add_u32 s60, 0x100, s80                                  // 000000006CEC: 803C50FF 00000100
	s_cmp_lt_u32 s60, s81                                      // 000000006CF4: BF0A513C
	s_cselect_b32 s83, s83, 0                                  // 000000006CF8: 85538053
	v_mfma_i32_16x16x32_i8 v[104:107], a[198:199], a[6:7], v[104:107]// 000000006CFC: D3D70068 1DA20DC6
	s_add_u32 s24, s58, s24                                    // 000000006D04: 8018183A
	s_addc_u32 s25, 0, s25                                     // 000000006D08: 82191980
	v_mfma_i32_16x16x32_i8 v[108:111], a[200:201], a[0:1], v[108:111]// 000000006D0C: D3D7006C 1DB201C8
	buffer_load_dwordx4 a[108:111], v40, s[84:87], 0 offen offset:1024// 000000006D14: E05C1400 80956C28
	s_add_u32 s20, s57, s20                                    // 000000006D1C: 80141439
	s_addc_u32 s21, 0, s21                                     // 000000006D20: 82151580
	v_mfma_i32_16x16x32_i8 v[108:111], a[202:203], a[2:3], v[108:111]// 000000006D24: D3D7006C 1DB205CA
	v_mfma_i32_16x16x32_i8 v[108:111], a[204:205], a[4:5], v[108:111]// 000000006D2C: D3D7006C 1DB209CC
	v_mfma_i32_16x16x32_i8 v[108:111], a[206:207], a[6:7], v[108:111]// 000000006D34: D3D7006C 1DB20DCE
	buffer_load_dwordx4 a[112:115], v41, s[84:87], 0 offen     // 000000006D3C: E05C1000 80957029
	buffer_load_dwordx4 a[116:119], v41, s[84:87], 0 offen offset:1024// 000000006D44: E05C1400 80957429
	buffer_load_dwordx4 a[120:123], v42, s[84:87], 0 offen     // 000000006D4C: E05C1000 8095782A
	buffer_load_dwordx4 a[124:127], v42, s[84:87], 0 offen offset:1024// 000000006D54: E05C1400 80957C2A
	buffer_load_dwordx4 a[128:131], v43, s[84:87], 0 offen     // 000000006D5C: E05C1000 8095802B
	buffer_load_dwordx4 a[132:135], v43, s[84:87], 0 offen offset:1024// 000000006D64: E05C1400 8095842B
	buffer_load_dwordx4 a[136:139], v44, s[84:87], 0 offen     // 000000006D6C: E05C1000 8095882C
	buffer_load_dwordx4 a[140:143], v44, s[84:87], 0 offen offset:1024// 000000006D74: E05C1400 80958C2C
	s_add_u32 s84, s83, s84                                    // 000000006D7C: 80545453
	s_addc_u32 s85, 0, s85                                     // 000000006D80: 82555580
	s_addk_i32 s80, 0x80                                       // 000000006D84: B7500080
	s_cmp_lt_i32 s80, s81                                      // 000000006D88: BF045150
	s_cbranch_scc0 label_1391                                  // 000000006D8C: BF8402AA
	s_waitcnt vmcnt(18) lgkmcnt(0)                             // 000000006D90: BF8C4072
	v_mfma_i32_16x16x32_i8 v[48:51], a[16:17], a[8:9], v[48:51]// 000000006D94: D3D70030 1CC21110
	buffer_load_dwordx4 a[144:147], v37, s[24:27], 0 offen     // 000000006D9C: E05C1000 80869025
	v_mfma_i32_16x16x32_i8 v[48:51], a[18:19], a[10:11], v[48:51]// 000000006DA4: D3D70030 1CC21512
	v_mfma_i32_16x16x32_i8 v[48:51], a[20:21], a[12:13], v[48:51]// 000000006DAC: D3D70030 1CC21914
	v_mfma_i32_16x16x32_i8 v[48:51], a[22:23], a[14:15], v[48:51]// 000000006DB4: D3D70030 1CC21D16
	v_mfma_i32_16x16x32_i8 v[52:55], a[24:25], a[8:9], v[52:55]// 000000006DBC: D3D70034 1CD21118
	buffer_load_dwordx4 a[148:151], v37, s[24:27], 0 offen offset:1024// 000000006DC4: E05C1400 80869425
	v_mfma_i32_16x16x32_i8 v[52:55], a[26:27], a[10:11], v[52:55]// 000000006DCC: D3D70034 1CD2151A
	v_mfma_i32_16x16x32_i8 v[52:55], a[28:29], a[12:13], v[52:55]// 000000006DD4: D3D70034 1CD2191C
	v_mfma_i32_16x16x32_i8 v[52:55], a[30:31], a[14:15], v[52:55]// 000000006DDC: D3D70034 1CD21D1E
	v_mfma_i32_16x16x32_i8 v[56:59], a[32:33], a[8:9], v[56:59]// 000000006DE4: D3D70038 1CE21120
	buffer_load_dwordx4 a[152:155], v38, s[24:27], 0 offen     // 000000006DEC: E05C1000 80869826
	v_mfma_i32_16x16x32_i8 v[56:59], a[34:35], a[10:11], v[56:59]// 000000006DF4: D3D70038 1CE21522
	v_mfma_i32_16x16x32_i8 v[56:59], a[36:37], a[12:13], v[56:59]// 000000006DFC: D3D70038 1CE21924
	v_mfma_i32_16x16x32_i8 v[56:59], a[38:39], a[14:15], v[56:59]// 000000006E04: D3D70038 1CE21D26
	v_mfma_i32_16x16x32_i8 v[60:63], a[40:41], a[8:9], v[60:63]// 000000006E0C: D3D7003C 1CF21128
	buffer_load_dwordx4 a[156:159], v38, s[24:27], 0 offen offset:1024// 000000006E14: E05C1400 80869C26
	v_mfma_i32_16x16x32_i8 v[60:63], a[42:43], a[10:11], v[60:63]// 000000006E1C: D3D7003C 1CF2152A
	v_mfma_i32_16x16x32_i8 v[60:63], a[44:45], a[12:13], v[60:63]// 000000006E24: D3D7003C 1CF2192C
	v_mfma_i32_16x16x32_i8 v[60:63], a[46:47], a[14:15], v[60:63]// 000000006E2C: D3D7003C 1CF21D2E
	v_mfma_i32_16x16x32_i8 v[64:67], a[48:49], a[8:9], v[64:67]// 000000006E34: D3D70040 1D021130
	buffer_load_dwordx4 a[160:163], v39, s[24:27], 0 offen     // 000000006E3C: E05C1000 8086A027
	v_mfma_i32_16x16x32_i8 v[64:67], a[50:51], a[10:11], v[64:67]// 000000006E44: D3D70040 1D021532
	v_mfma_i32_16x16x32_i8 v[64:67], a[52:53], a[12:13], v[64:67]// 000000006E4C: D3D70040 1D021934
	v_mfma_i32_16x16x32_i8 v[64:67], a[54:55], a[14:15], v[64:67]// 000000006E54: D3D70040 1D021D36
	v_mfma_i32_16x16x32_i8 v[68:71], a[56:57], a[8:9], v[68:71]// 000000006E5C: D3D70044 1D121138
	buffer_load_dwordx4 a[164:167], v39, s[24:27], 0 offen offset:1024// 000000006E64: E05C1400 8086A427
	v_mfma_i32_16x16x32_i8 v[68:71], a[58:59], a[10:11], v[68:71]// 000000006E6C: D3D70044 1D12153A
	v_mfma_i32_16x16x32_i8 v[68:71], a[60:61], a[12:13], v[68:71]// 000000006E74: D3D70044 1D12193C
	v_mfma_i32_16x16x32_i8 v[68:71], a[62:63], a[14:15], v[68:71]// 000000006E7C: D3D70044 1D121D3E
	v_mfma_i32_16x16x32_i8 v[72:75], a[64:65], a[8:9], v[72:75]// 000000006E84: D3D70048 1D221140
	buffer_load_dwordx4 a[168:171], v40, s[24:27], 0 offen     // 000000006E8C: E05C1000 8086A828
	v_mfma_i32_16x16x32_i8 v[72:75], a[66:67], a[10:11], v[72:75]// 000000006E94: D3D70048 1D221542
	v_mfma_i32_16x16x32_i8 v[72:75], a[68:69], a[12:13], v[72:75]// 000000006E9C: D3D70048 1D221944
	v_mfma_i32_16x16x32_i8 v[72:75], a[70:71], a[14:15], v[72:75]// 000000006EA4: D3D70048 1D221D46
	v_mfma_i32_16x16x32_i8 v[76:79], a[72:73], a[8:9], v[76:79]// 000000006EAC: D3D7004C 1D321148
	buffer_load_dwordx4 a[172:175], v40, s[24:27], 0 offen offset:1024// 000000006EB4: E05C1400 8086AC28
	v_mfma_i32_16x16x32_i8 v[76:79], a[74:75], a[10:11], v[76:79]// 000000006EBC: D3D7004C 1D32154A
	v_mfma_i32_16x16x32_i8 v[76:79], a[76:77], a[12:13], v[76:79]// 000000006EC4: D3D7004C 1D32194C
	v_mfma_i32_16x16x32_i8 v[76:79], a[78:79], a[14:15], v[76:79]// 000000006ECC: D3D7004C 1D321D4E
	buffer_load_dwordx4 a[176:179], v41, s[24:27], 0 offen     // 000000006ED4: E05C1000 8086B029
	buffer_load_dwordx4 a[180:183], v41, s[24:27], 0 offen offset:1024// 000000006EDC: E05C1400 8086B429
	buffer_load_dwordx4 a[184:187], v42, s[24:27], 0 offen     // 000000006EE4: E05C1000 8086B82A
	buffer_load_dwordx4 a[188:191], v42, s[24:27], 0 offen offset:1024// 000000006EEC: E05C1400 8086BC2A
	buffer_load_dwordx4 a[192:195], v43, s[24:27], 0 offen     // 000000006EF4: E05C1000 8086C02B
	buffer_load_dwordx4 a[196:199], v43, s[24:27], 0 offen offset:1024// 000000006EFC: E05C1400 8086C42B
	buffer_load_dwordx4 a[200:203], v44, s[24:27], 0 offen     // 000000006F04: E05C1000 8086C82C
	buffer_load_dwordx4 a[204:207], v44, s[24:27], 0 offen offset:1024// 000000006F0C: E05C1400 8086CC2C
	buffer_load_dword v35, s[20:23], 0 offen lds               // 000000006F14: E0511000 80050023
	s_add_u32 m0, 0x100, s50                                   // 000000006F1C: 807C32FF 00000100
	buffer_load_dword v36, s[20:23], 0 offen lds               // 000000006F24: E0511000 80050024
	s_add_u32 m0, 0, s48                                       // 000000006F2C: 807C3080
	s_waitcnt vmcnt(18)                                        // 000000006F30: BF8C4F72
	s_barrier                                                  // 000000006F34: BF8A0000
	v_mfma_i32_16x16x32_i8 v[80:83], a[80:81], a[8:9], v[80:83]// 000000006F38: D3D70050 1D421150
	buffer_load_dwordx4 a[16:19], v37, s[84:87], 0 offen       // 000000006F40: E05C1000 80951025
	v_mfma_i32_16x16x32_i8 v[80:83], a[82:83], a[10:11], v[80:83]// 000000006F48: D3D70050 1D421552
	v_mfma_i32_16x16x32_i8 v[80:83], a[84:85], a[12:13], v[80:83]// 000000006F50: D3D70050 1D421954
	ds_read_b128 a[0:3], v2 offset:2176                        // 000000006F58: DBFE0880 00000002
	ds_read_b128 a[4:7], v2 offset:2240                        // 000000006F60: DBFE08C0 04000002
	v_mfma_i32_16x16x32_i8 v[80:83], a[86:87], a[14:15], v[80:83]// 000000006F68: D3D70050 1D421D56
	v_mfma_i32_16x16x32_i8 v[84:87], a[88:89], a[8:9], v[84:87]// 000000006F70: D3D70054 1D521158
	buffer_load_dwordx4 a[20:23], v37, s[84:87], 0 offen offset:1024// 000000006F78: E05C1400 80951425
	v_mfma_i32_16x16x32_i8 v[84:87], a[90:91], a[10:11], v[84:87]// 000000006F80: D3D70054 1D52155A
	v_mfma_i32_16x16x32_i8 v[84:87], a[92:93], a[12:13], v[84:87]// 000000006F88: D3D70054 1D52195C
	v_mfma_i32_16x16x32_i8 v[84:87], a[94:95], a[14:15], v[84:87]// 000000006F90: D3D70054 1D521D5E
	v_mfma_i32_16x16x32_i8 v[88:91], a[96:97], a[8:9], v[88:91]// 000000006F98: D3D70058 1D621160
	buffer_load_dwordx4 a[24:27], v38, s[84:87], 0 offen       // 000000006FA0: E05C1000 80951826
	v_mfma_i32_16x16x32_i8 v[88:91], a[98:99], a[10:11], v[88:91]// 000000006FA8: D3D70058 1D621562
	v_mfma_i32_16x16x32_i8 v[88:91], a[100:101], a[12:13], v[88:91]// 000000006FB0: D3D70058 1D621964
	v_mfma_i32_16x16x32_i8 v[88:91], a[102:103], a[14:15], v[88:91]// 000000006FB8: D3D70058 1D621D66
	v_mfma_i32_16x16x32_i8 v[92:95], a[104:105], a[8:9], v[92:95]// 000000006FC0: D3D7005C 1D721168
	buffer_load_dwordx4 a[28:31], v38, s[84:87], 0 offen offset:1024// 000000006FC8: E05C1400 80951C26
	v_mfma_i32_16x16x32_i8 v[92:95], a[106:107], a[10:11], v[92:95]// 000000006FD0: D3D7005C 1D72156A
	v_mfma_i32_16x16x32_i8 v[92:95], a[108:109], a[12:13], v[92:95]// 000000006FD8: D3D7005C 1D72196C
	v_mfma_i32_16x16x32_i8 v[92:95], a[110:111], a[14:15], v[92:95]// 000000006FE0: D3D7005C 1D721D6E
	v_mfma_i32_16x16x32_i8 v[96:99], a[112:113], a[8:9], v[96:99]// 000000006FE8: D3D70060 1D821170
	buffer_load_dwordx4 a[32:35], v39, s[84:87], 0 offen       // 000000006FF0: E05C1000 80952027
	v_mfma_i32_16x16x32_i8 v[96:99], a[114:115], a[10:11], v[96:99]// 000000006FF8: D3D70060 1D821572
	v_mfma_i32_16x16x32_i8 v[96:99], a[116:117], a[12:13], v[96:99]// 000000007000: D3D70060 1D821974
	v_mfma_i32_16x16x32_i8 v[96:99], a[118:119], a[14:15], v[96:99]// 000000007008: D3D70060 1D821D76
	v_mfma_i32_16x16x32_i8 v[100:103], a[120:121], a[8:9], v[100:103]// 000000007010: D3D70064 1D921178
	buffer_load_dwordx4 a[36:39], v39, s[84:87], 0 offen offset:1024// 000000007018: E05C1400 80952427
	v_mfma_i32_16x16x32_i8 v[100:103], a[122:123], a[10:11], v[100:103]// 000000007020: D3D70064 1D92157A
	v_mfma_i32_16x16x32_i8 v[100:103], a[124:125], a[12:13], v[100:103]// 000000007028: D3D70064 1D92197C
	v_mfma_i32_16x16x32_i8 v[100:103], a[126:127], a[14:15], v[100:103]// 000000007030: D3D70064 1D921D7E
	v_mfma_i32_16x16x32_i8 v[104:107], a[128:129], a[8:9], v[104:107]// 000000007038: D3D70068 1DA21180
	buffer_load_dwordx4 a[40:43], v40, s[84:87], 0 offen       // 000000007040: E05C1000 80952828
	s_add_u32 s60, 0x180, s80                                  // 000000007048: 803C50FF 00000180
	s_cmp_lt_u32 s60, s81                                      // 000000007050: BF0A513C
	s_cselect_b32 s57, s57, 0                                  // 000000007054: 85398039
	v_mfma_i32_16x16x32_i8 v[104:107], a[130:131], a[10:11], v[104:107]// 000000007058: D3D70068 1DA21582
	s_add_u32 s60, 0x100, s80                                  // 000000007060: 803C50FF 00000100
	s_cmp_lt_u32 s60, s81                                      // 000000007068: BF0A513C
	s_cselect_b32 s58, s58, 0                                  // 00000000706C: 853A803A
	v_mfma_i32_16x16x32_i8 v[104:107], a[132:133], a[12:13], v[104:107]// 000000007070: D3D70068 1DA21984
	s_add_u32 s60, 0x100, s80                                  // 000000007078: 803C50FF 00000100
	s_cmp_lt_u32 s60, s81                                      // 000000007080: BF0A513C
	s_cselect_b32 s83, s83, 0                                  // 000000007084: 85538053
	v_mfma_i32_16x16x32_i8 v[104:107], a[134:135], a[14:15], v[104:107]// 000000007088: D3D70068 1DA21D86
	s_add_u32 s24, s58, s24                                    // 000000007090: 8018183A
	s_addc_u32 s25, 0, s25                                     // 000000007094: 82191980
	v_mfma_i32_16x16x32_i8 v[108:111], a[136:137], a[8:9], v[108:111]// 000000007098: D3D7006C 1DB21188
	buffer_load_dwordx4 a[44:47], v40, s[84:87], 0 offen offset:1024// 0000000070A0: E05C1400 80952C28
	s_add_u32 s20, s57, s20                                    // 0000000070A8: 80141439
	s_addc_u32 s21, 0, s21                                     // 0000000070AC: 82151580
	v_mfma_i32_16x16x32_i8 v[108:111], a[138:139], a[10:11], v[108:111]// 0000000070B0: D3D7006C 1DB2158A
	v_mfma_i32_16x16x32_i8 v[108:111], a[140:141], a[12:13], v[108:111]// 0000000070B8: D3D7006C 1DB2198C
	v_mfma_i32_16x16x32_i8 v[108:111], a[142:143], a[14:15], v[108:111]// 0000000070C0: D3D7006C 1DB21D8E
	buffer_load_dwordx4 a[48:51], v41, s[84:87], 0 offen       // 0000000070C8: E05C1000 80953029
	buffer_load_dwordx4 a[52:55], v41, s[84:87], 0 offen offset:1024// 0000000070D0: E05C1400 80953429
	buffer_load_dwordx4 a[56:59], v42, s[84:87], 0 offen       // 0000000070D8: E05C1000 8095382A
	buffer_load_dwordx4 a[60:63], v42, s[84:87], 0 offen offset:1024// 0000000070E0: E05C1400 80953C2A
	buffer_load_dwordx4 a[64:67], v43, s[84:87], 0 offen       // 0000000070E8: E05C1000 8095402B
	buffer_load_dwordx4 a[68:71], v43, s[84:87], 0 offen offset:1024// 0000000070F0: E05C1400 8095442B
	buffer_load_dwordx4 a[72:75], v44, s[84:87], 0 offen       // 0000000070F8: E05C1000 8095482C
	buffer_load_dwordx4 a[76:79], v44, s[84:87], 0 offen offset:1024// 000000007100: E05C1400 80954C2C
	s_add_u32 s84, s83, s84                                    // 000000007108: 80545453
	s_addc_u32 s85, 0, s85                                     // 00000000710C: 82555580
	s_addk_i32 s80, 0x80                                       // 000000007110: B7500080
	s_cmp_lt_i32 s80, s81                                      // 000000007114: BF045150
	s_cbranch_scc0 label_1391                                  // 000000007118: BF8401C7
	s_waitcnt vmcnt(18) lgkmcnt(0)                             // 00000000711C: BF8C4072
	v_mfma_i32_16x16x32_i8 v[48:51], a[144:145], a[0:1], v[48:51]// 000000007120: D3D70030 1CC20190
	buffer_load_dwordx4 a[80:83], v37, s[24:27], 0 offen       // 000000007128: E05C1000 80865025
	v_mfma_i32_16x16x32_i8 v[48:51], a[146:147], a[2:3], v[48:51]// 000000007130: D3D70030 1CC20592
	v_mfma_i32_16x16x32_i8 v[48:51], a[148:149], a[4:5], v[48:51]// 000000007138: D3D70030 1CC20994
	v_mfma_i32_16x16x32_i8 v[48:51], a[150:151], a[6:7], v[48:51]// 000000007140: D3D70030 1CC20D96
	v_mfma_i32_16x16x32_i8 v[52:55], a[152:153], a[0:1], v[52:55]// 000000007148: D3D70034 1CD20198
	buffer_load_dwordx4 a[84:87], v37, s[24:27], 0 offen offset:1024// 000000007150: E05C1400 80865425
	v_mfma_i32_16x16x32_i8 v[52:55], a[154:155], a[2:3], v[52:55]// 000000007158: D3D70034 1CD2059A
	v_mfma_i32_16x16x32_i8 v[52:55], a[156:157], a[4:5], v[52:55]// 000000007160: D3D70034 1CD2099C
	v_mfma_i32_16x16x32_i8 v[52:55], a[158:159], a[6:7], v[52:55]// 000000007168: D3D70034 1CD20D9E
	v_mfma_i32_16x16x32_i8 v[56:59], a[160:161], a[0:1], v[56:59]// 000000007170: D3D70038 1CE201A0
	buffer_load_dwordx4 a[88:91], v38, s[24:27], 0 offen       // 000000007178: E05C1000 80865826
	v_mfma_i32_16x16x32_i8 v[56:59], a[162:163], a[2:3], v[56:59]// 000000007180: D3D70038 1CE205A2
	v_mfma_i32_16x16x32_i8 v[56:59], a[164:165], a[4:5], v[56:59]// 000000007188: D3D70038 1CE209A4
	v_mfma_i32_16x16x32_i8 v[56:59], a[166:167], a[6:7], v[56:59]// 000000007190: D3D70038 1CE20DA6
	v_mfma_i32_16x16x32_i8 v[60:63], a[168:169], a[0:1], v[60:63]// 000000007198: D3D7003C 1CF201A8
	buffer_load_dwordx4 a[92:95], v38, s[24:27], 0 offen offset:1024// 0000000071A0: E05C1400 80865C26
	v_mfma_i32_16x16x32_i8 v[60:63], a[170:171], a[2:3], v[60:63]// 0000000071A8: D3D7003C 1CF205AA
	v_mfma_i32_16x16x32_i8 v[60:63], a[172:173], a[4:5], v[60:63]// 0000000071B0: D3D7003C 1CF209AC
	v_mfma_i32_16x16x32_i8 v[60:63], a[174:175], a[6:7], v[60:63]// 0000000071B8: D3D7003C 1CF20DAE
	v_mfma_i32_16x16x32_i8 v[64:67], a[176:177], a[0:1], v[64:67]// 0000000071C0: D3D70040 1D0201B0
	buffer_load_dwordx4 a[96:99], v39, s[24:27], 0 offen       // 0000000071C8: E05C1000 80866027
	v_mfma_i32_16x16x32_i8 v[64:67], a[178:179], a[2:3], v[64:67]// 0000000071D0: D3D70040 1D0205B2
	v_mfma_i32_16x16x32_i8 v[64:67], a[180:181], a[4:5], v[64:67]// 0000000071D8: D3D70040 1D0209B4
	v_mfma_i32_16x16x32_i8 v[64:67], a[182:183], a[6:7], v[64:67]// 0000000071E0: D3D70040 1D020DB6
	v_mfma_i32_16x16x32_i8 v[68:71], a[184:185], a[0:1], v[68:71]// 0000000071E8: D3D70044 1D1201B8
	buffer_load_dwordx4 a[100:103], v39, s[24:27], 0 offen offset:1024// 0000000071F0: E05C1400 80866427
	v_mfma_i32_16x16x32_i8 v[68:71], a[186:187], a[2:3], v[68:71]// 0000000071F8: D3D70044 1D1205BA
	v_mfma_i32_16x16x32_i8 v[68:71], a[188:189], a[4:5], v[68:71]// 000000007200: D3D70044 1D1209BC
	v_mfma_i32_16x16x32_i8 v[68:71], a[190:191], a[6:7], v[68:71]// 000000007208: D3D70044 1D120DBE
	v_mfma_i32_16x16x32_i8 v[72:75], a[192:193], a[0:1], v[72:75]// 000000007210: D3D70048 1D2201C0
	buffer_load_dwordx4 a[104:107], v40, s[24:27], 0 offen     // 000000007218: E05C1000 80866828
	v_mfma_i32_16x16x32_i8 v[72:75], a[194:195], a[2:3], v[72:75]// 000000007220: D3D70048 1D2205C2
	v_mfma_i32_16x16x32_i8 v[72:75], a[196:197], a[4:5], v[72:75]// 000000007228: D3D70048 1D2209C4
	v_mfma_i32_16x16x32_i8 v[72:75], a[198:199], a[6:7], v[72:75]// 000000007230: D3D70048 1D220DC6
	v_mfma_i32_16x16x32_i8 v[76:79], a[200:201], a[0:1], v[76:79]// 000000007238: D3D7004C 1D3201C8
	buffer_load_dwordx4 a[108:111], v40, s[24:27], 0 offen offset:1024// 000000007240: E05C1400 80866C28
	v_mfma_i32_16x16x32_i8 v[76:79], a[202:203], a[2:3], v[76:79]// 000000007248: D3D7004C 1D3205CA
	v_mfma_i32_16x16x32_i8 v[76:79], a[204:205], a[4:5], v[76:79]// 000000007250: D3D7004C 1D3209CC
	v_mfma_i32_16x16x32_i8 v[76:79], a[206:207], a[6:7], v[76:79]// 000000007258: D3D7004C 1D320DCE
	buffer_load_dwordx4 a[112:115], v41, s[24:27], 0 offen     // 000000007260: E05C1000 80867029
	buffer_load_dwordx4 a[116:119], v41, s[24:27], 0 offen offset:1024// 000000007268: E05C1400 80867429
	buffer_load_dwordx4 a[120:123], v42, s[24:27], 0 offen     // 000000007270: E05C1000 8086782A
	buffer_load_dwordx4 a[124:127], v42, s[24:27], 0 offen offset:1024// 000000007278: E05C1400 80867C2A
	buffer_load_dwordx4 a[128:131], v43, s[24:27], 0 offen     // 000000007280: E05C1000 8086802B
	buffer_load_dwordx4 a[132:135], v43, s[24:27], 0 offen offset:1024// 000000007288: E05C1400 8086842B
	buffer_load_dwordx4 a[136:139], v44, s[24:27], 0 offen     // 000000007290: E05C1000 8086882C
	buffer_load_dwordx4 a[140:143], v44, s[24:27], 0 offen offset:1024// 000000007298: E05C1400 80868C2C
	buffer_load_dword v35, s[20:23], 0 offen lds               // 0000000072A0: E0511000 80050023
	s_add_u32 m0, 0x100, s48                                   // 0000000072A8: 807C30FF 00000100
	buffer_load_dword v36, s[20:23], 0 offen lds               // 0000000072B0: E0511000 80050024
	s_add_u32 m0, 0, s49                                       // 0000000072B8: 807C3180
	s_waitcnt vmcnt(18)                                        // 0000000072BC: BF8C4F72
	s_barrier                                                  // 0000000072C0: BF8A0000
	v_mfma_i32_16x16x32_i8 v[80:83], a[16:17], a[0:1], v[80:83]// 0000000072C4: D3D70050 1D420110
	buffer_load_dwordx4 a[144:147], v37, s[84:87], 0 offen     // 0000000072CC: E05C1000 80959025
	v_mfma_i32_16x16x32_i8 v[80:83], a[18:19], a[2:3], v[80:83]// 0000000072D4: D3D70050 1D420512
	v_mfma_i32_16x16x32_i8 v[80:83], a[20:21], a[4:5], v[80:83]// 0000000072DC: D3D70050 1D420914
	ds_read_b128 a[8:11], v2 offset:4352                       // 0000000072E4: DBFE1100 08000002
	ds_read_b128 a[12:15], v2 offset:4416                      // 0000000072EC: DBFE1140 0C000002
	v_mfma_i32_16x16x32_i8 v[80:83], a[22:23], a[6:7], v[80:83]// 0000000072F4: D3D70050 1D420D16
	v_mfma_i32_16x16x32_i8 v[84:87], a[24:25], a[0:1], v[84:87]// 0000000072FC: D3D70054 1D520118
	buffer_load_dwordx4 a[148:151], v37, s[84:87], 0 offen offset:1024// 000000007304: E05C1400 80959425
	v_mfma_i32_16x16x32_i8 v[84:87], a[26:27], a[2:3], v[84:87]// 00000000730C: D3D70054 1D52051A
	v_mfma_i32_16x16x32_i8 v[84:87], a[28:29], a[4:5], v[84:87]// 000000007314: D3D70054 1D52091C
	v_mfma_i32_16x16x32_i8 v[84:87], a[30:31], a[6:7], v[84:87]// 00000000731C: D3D70054 1D520D1E
	v_mfma_i32_16x16x32_i8 v[88:91], a[32:33], a[0:1], v[88:91]// 000000007324: D3D70058 1D620120
	buffer_load_dwordx4 a[152:155], v38, s[84:87], 0 offen     // 00000000732C: E05C1000 80959826
	v_mfma_i32_16x16x32_i8 v[88:91], a[34:35], a[2:3], v[88:91]// 000000007334: D3D70058 1D620522
	v_mfma_i32_16x16x32_i8 v[88:91], a[36:37], a[4:5], v[88:91]// 00000000733C: D3D70058 1D620924
	v_mfma_i32_16x16x32_i8 v[88:91], a[38:39], a[6:7], v[88:91]// 000000007344: D3D70058 1D620D26
	v_mfma_i32_16x16x32_i8 v[92:95], a[40:41], a[0:1], v[92:95]// 00000000734C: D3D7005C 1D720128
	buffer_load_dwordx4 a[156:159], v38, s[84:87], 0 offen offset:1024// 000000007354: E05C1400 80959C26
	v_mfma_i32_16x16x32_i8 v[92:95], a[42:43], a[2:3], v[92:95]// 00000000735C: D3D7005C 1D72052A
	v_mfma_i32_16x16x32_i8 v[92:95], a[44:45], a[4:5], v[92:95]// 000000007364: D3D7005C 1D72092C
	v_mfma_i32_16x16x32_i8 v[92:95], a[46:47], a[6:7], v[92:95]// 00000000736C: D3D7005C 1D720D2E
	v_mfma_i32_16x16x32_i8 v[96:99], a[48:49], a[0:1], v[96:99]// 000000007374: D3D70060 1D820130
	buffer_load_dwordx4 a[160:163], v39, s[84:87], 0 offen     // 00000000737C: E05C1000 8095A027
	v_mfma_i32_16x16x32_i8 v[96:99], a[50:51], a[2:3], v[96:99]// 000000007384: D3D70060 1D820532
	v_mfma_i32_16x16x32_i8 v[96:99], a[52:53], a[4:5], v[96:99]// 00000000738C: D3D70060 1D820934
	v_mfma_i32_16x16x32_i8 v[96:99], a[54:55], a[6:7], v[96:99]// 000000007394: D3D70060 1D820D36
	v_mfma_i32_16x16x32_i8 v[100:103], a[56:57], a[0:1], v[100:103]// 00000000739C: D3D70064 1D920138
	buffer_load_dwordx4 a[164:167], v39, s[84:87], 0 offen offset:1024// 0000000073A4: E05C1400 8095A427
	v_mfma_i32_16x16x32_i8 v[100:103], a[58:59], a[2:3], v[100:103]// 0000000073AC: D3D70064 1D92053A
	v_mfma_i32_16x16x32_i8 v[100:103], a[60:61], a[4:5], v[100:103]// 0000000073B4: D3D70064 1D92093C
	v_mfma_i32_16x16x32_i8 v[100:103], a[62:63], a[6:7], v[100:103]// 0000000073BC: D3D70064 1D920D3E
	v_mfma_i32_16x16x32_i8 v[104:107], a[64:65], a[0:1], v[104:107]// 0000000073C4: D3D70068 1DA20140
	buffer_load_dwordx4 a[168:171], v40, s[84:87], 0 offen     // 0000000073CC: E05C1000 8095A828
	s_add_u32 s60, 0x180, s80                                  // 0000000073D4: 803C50FF 00000180
	s_cmp_lt_u32 s60, s81                                      // 0000000073DC: BF0A513C
	s_cselect_b32 s57, s57, 0                                  // 0000000073E0: 85398039
	v_mfma_i32_16x16x32_i8 v[104:107], a[66:67], a[2:3], v[104:107]// 0000000073E4: D3D70068 1DA20542
	s_add_u32 s60, 0x100, s80                                  // 0000000073EC: 803C50FF 00000100
	s_cmp_lt_u32 s60, s81                                      // 0000000073F4: BF0A513C
	s_cselect_b32 s58, s58, 0                                  // 0000000073F8: 853A803A
	v_mfma_i32_16x16x32_i8 v[104:107], a[68:69], a[4:5], v[104:107]// 0000000073FC: D3D70068 1DA20944
	s_add_u32 s60, 0x100, s80                                  // 000000007404: 803C50FF 00000100
	s_cmp_lt_u32 s60, s81                                      // 00000000740C: BF0A513C
	s_cselect_b32 s83, s83, 0                                  // 000000007410: 85538053
	v_mfma_i32_16x16x32_i8 v[104:107], a[70:71], a[6:7], v[104:107]// 000000007414: D3D70068 1DA20D46
	s_add_u32 s24, s58, s24                                    // 00000000741C: 8018183A
	s_addc_u32 s25, 0, s25                                     // 000000007420: 82191980
	v_mfma_i32_16x16x32_i8 v[108:111], a[72:73], a[0:1], v[108:111]// 000000007424: D3D7006C 1DB20148
	buffer_load_dwordx4 a[172:175], v40, s[84:87], 0 offen offset:1024// 00000000742C: E05C1400 8095AC28
	s_add_u32 s20, s57, s20                                    // 000000007434: 80141439
	s_addc_u32 s21, 0, s21                                     // 000000007438: 82151580
	v_mfma_i32_16x16x32_i8 v[108:111], a[74:75], a[2:3], v[108:111]// 00000000743C: D3D7006C 1DB2054A
	v_mfma_i32_16x16x32_i8 v[108:111], a[76:77], a[4:5], v[108:111]// 000000007444: D3D7006C 1DB2094C
	v_mfma_i32_16x16x32_i8 v[108:111], a[78:79], a[6:7], v[108:111]// 00000000744C: D3D7006C 1DB20D4E
	buffer_load_dwordx4 a[176:179], v41, s[84:87], 0 offen     // 000000007454: E05C1000 8095B029
	buffer_load_dwordx4 a[180:183], v41, s[84:87], 0 offen offset:1024// 00000000745C: E05C1400 8095B429
	buffer_load_dwordx4 a[184:187], v42, s[84:87], 0 offen     // 000000007464: E05C1000 8095B82A
	buffer_load_dwordx4 a[188:191], v42, s[84:87], 0 offen offset:1024// 00000000746C: E05C1400 8095BC2A
	buffer_load_dwordx4 a[192:195], v43, s[84:87], 0 offen     // 000000007474: E05C1000 8095C02B
	buffer_load_dwordx4 a[196:199], v43, s[84:87], 0 offen offset:1024// 00000000747C: E05C1400 8095C42B
	buffer_load_dwordx4 a[200:203], v44, s[84:87], 0 offen     // 000000007484: E05C1000 8095C82C
	buffer_load_dwordx4 a[204:207], v44, s[84:87], 0 offen offset:1024// 00000000748C: E05C1400 8095CC2C
	s_add_u32 s84, s83, s84                                    // 000000007494: 80545453
	s_addc_u32 s85, 0, s85                                     // 000000007498: 82555580
	s_addk_i32 s80, 0x80                                       // 00000000749C: B7500080
	s_cmp_lt_i32 s80, s81                                      // 0000000074A0: BF045150
	s_cbranch_scc0 label_1391                                  // 0000000074A4: BF8400E4
	s_waitcnt vmcnt(18) lgkmcnt(0)                             // 0000000074A8: BF8C4072
	v_mfma_i32_16x16x32_i8 v[48:51], a[80:81], a[8:9], v[48:51]// 0000000074AC: D3D70030 1CC21150
	buffer_load_dwordx4 a[16:19], v37, s[24:27], 0 offen       // 0000000074B4: E05C1000 80861025
	v_mfma_i32_16x16x32_i8 v[48:51], a[82:83], a[10:11], v[48:51]// 0000000074BC: D3D70030 1CC21552
	v_mfma_i32_16x16x32_i8 v[48:51], a[84:85], a[12:13], v[48:51]// 0000000074C4: D3D70030 1CC21954
	v_mfma_i32_16x16x32_i8 v[48:51], a[86:87], a[14:15], v[48:51]// 0000000074CC: D3D70030 1CC21D56
	v_mfma_i32_16x16x32_i8 v[52:55], a[88:89], a[8:9], v[52:55]// 0000000074D4: D3D70034 1CD21158
	buffer_load_dwordx4 a[20:23], v37, s[24:27], 0 offen offset:1024// 0000000074DC: E05C1400 80861425
	v_mfma_i32_16x16x32_i8 v[52:55], a[90:91], a[10:11], v[52:55]// 0000000074E4: D3D70034 1CD2155A
	v_mfma_i32_16x16x32_i8 v[52:55], a[92:93], a[12:13], v[52:55]// 0000000074EC: D3D70034 1CD2195C
	v_mfma_i32_16x16x32_i8 v[52:55], a[94:95], a[14:15], v[52:55]// 0000000074F4: D3D70034 1CD21D5E
	v_mfma_i32_16x16x32_i8 v[56:59], a[96:97], a[8:9], v[56:59]// 0000000074FC: D3D70038 1CE21160
	buffer_load_dwordx4 a[24:27], v38, s[24:27], 0 offen       // 000000007504: E05C1000 80861826
	v_mfma_i32_16x16x32_i8 v[56:59], a[98:99], a[10:11], v[56:59]// 00000000750C: D3D70038 1CE21562
	v_mfma_i32_16x16x32_i8 v[56:59], a[100:101], a[12:13], v[56:59]// 000000007514: D3D70038 1CE21964
	v_mfma_i32_16x16x32_i8 v[56:59], a[102:103], a[14:15], v[56:59]// 00000000751C: D3D70038 1CE21D66
	v_mfma_i32_16x16x32_i8 v[60:63], a[104:105], a[8:9], v[60:63]// 000000007524: D3D7003C 1CF21168
	buffer_load_dwordx4 a[28:31], v38, s[24:27], 0 offen offset:1024// 00000000752C: E05C1400 80861C26
	v_mfma_i32_16x16x32_i8 v[60:63], a[106:107], a[10:11], v[60:63]// 000000007534: D3D7003C 1CF2156A
	v_mfma_i32_16x16x32_i8 v[60:63], a[108:109], a[12:13], v[60:63]// 00000000753C: D3D7003C 1CF2196C
	v_mfma_i32_16x16x32_i8 v[60:63], a[110:111], a[14:15], v[60:63]// 000000007544: D3D7003C 1CF21D6E
	v_mfma_i32_16x16x32_i8 v[64:67], a[112:113], a[8:9], v[64:67]// 00000000754C: D3D70040 1D021170
	buffer_load_dwordx4 a[32:35], v39, s[24:27], 0 offen       // 000000007554: E05C1000 80862027
	v_mfma_i32_16x16x32_i8 v[64:67], a[114:115], a[10:11], v[64:67]// 00000000755C: D3D70040 1D021572
	v_mfma_i32_16x16x32_i8 v[64:67], a[116:117], a[12:13], v[64:67]// 000000007564: D3D70040 1D021974
	v_mfma_i32_16x16x32_i8 v[64:67], a[118:119], a[14:15], v[64:67]// 00000000756C: D3D70040 1D021D76
	v_mfma_i32_16x16x32_i8 v[68:71], a[120:121], a[8:9], v[68:71]// 000000007574: D3D70044 1D121178
	buffer_load_dwordx4 a[36:39], v39, s[24:27], 0 offen offset:1024// 00000000757C: E05C1400 80862427
	v_mfma_i32_16x16x32_i8 v[68:71], a[122:123], a[10:11], v[68:71]// 000000007584: D3D70044 1D12157A
	v_mfma_i32_16x16x32_i8 v[68:71], a[124:125], a[12:13], v[68:71]// 00000000758C: D3D70044 1D12197C
	v_mfma_i32_16x16x32_i8 v[68:71], a[126:127], a[14:15], v[68:71]// 000000007594: D3D70044 1D121D7E
	v_mfma_i32_16x16x32_i8 v[72:75], a[128:129], a[8:9], v[72:75]// 00000000759C: D3D70048 1D221180
	buffer_load_dwordx4 a[40:43], v40, s[24:27], 0 offen       // 0000000075A4: E05C1000 80862828
	v_mfma_i32_16x16x32_i8 v[72:75], a[130:131], a[10:11], v[72:75]// 0000000075AC: D3D70048 1D221582
	v_mfma_i32_16x16x32_i8 v[72:75], a[132:133], a[12:13], v[72:75]// 0000000075B4: D3D70048 1D221984
	v_mfma_i32_16x16x32_i8 v[72:75], a[134:135], a[14:15], v[72:75]// 0000000075BC: D3D70048 1D221D86
	v_mfma_i32_16x16x32_i8 v[76:79], a[136:137], a[8:9], v[76:79]// 0000000075C4: D3D7004C 1D321188
	buffer_load_dwordx4 a[44:47], v40, s[24:27], 0 offen offset:1024// 0000000075CC: E05C1400 80862C28
	v_mfma_i32_16x16x32_i8 v[76:79], a[138:139], a[10:11], v[76:79]// 0000000075D4: D3D7004C 1D32158A
	v_mfma_i32_16x16x32_i8 v[76:79], a[140:141], a[12:13], v[76:79]// 0000000075DC: D3D7004C 1D32198C
	v_mfma_i32_16x16x32_i8 v[76:79], a[142:143], a[14:15], v[76:79]// 0000000075E4: D3D7004C 1D321D8E
	buffer_load_dwordx4 a[48:51], v41, s[24:27], 0 offen       // 0000000075EC: E05C1000 80863029
	buffer_load_dwordx4 a[52:55], v41, s[24:27], 0 offen offset:1024// 0000000075F4: E05C1400 80863429
	buffer_load_dwordx4 a[56:59], v42, s[24:27], 0 offen       // 0000000075FC: E05C1000 8086382A
	buffer_load_dwordx4 a[60:63], v42, s[24:27], 0 offen offset:1024// 000000007604: E05C1400 80863C2A
	buffer_load_dwordx4 a[64:67], v43, s[24:27], 0 offen       // 00000000760C: E05C1000 8086402B
	buffer_load_dwordx4 a[68:71], v43, s[24:27], 0 offen offset:1024// 000000007614: E05C1400 8086442B
	buffer_load_dwordx4 a[72:75], v44, s[24:27], 0 offen       // 00000000761C: E05C1000 8086482C
	buffer_load_dwordx4 a[76:79], v44, s[24:27], 0 offen offset:1024// 000000007624: E05C1400 80864C2C
	buffer_load_dword v35, s[20:23], 0 offen lds               // 00000000762C: E0511000 80050023
	s_add_u32 m0, 0x100, s49                                   // 000000007634: 807C31FF 00000100
	buffer_load_dword v36, s[20:23], 0 offen lds               // 00000000763C: E0511000 80050024
	s_add_u32 m0, 0, s50                                       // 000000007644: 807C3280
	s_waitcnt vmcnt(18)                                        // 000000007648: BF8C4F72
	s_barrier                                                  // 00000000764C: BF8A0000
	v_mfma_i32_16x16x32_i8 v[80:83], a[144:145], a[8:9], v[80:83]// 000000007650: D3D70050 1D421190
	buffer_load_dwordx4 a[80:83], v37, s[84:87], 0 offen       // 000000007658: E05C1000 80955025
	v_mfma_i32_16x16x32_i8 v[80:83], a[146:147], a[10:11], v[80:83]// 000000007660: D3D70050 1D421592
	v_mfma_i32_16x16x32_i8 v[80:83], a[148:149], a[12:13], v[80:83]// 000000007668: D3D70050 1D421994
	ds_read_b128 a[0:3], v2                                    // 000000007670: DBFE0000 00000002
	ds_read_b128 a[4:7], v2 offset:64                          // 000000007678: DBFE0040 04000002
	v_mfma_i32_16x16x32_i8 v[80:83], a[150:151], a[14:15], v[80:83]// 000000007680: D3D70050 1D421D96
	v_mfma_i32_16x16x32_i8 v[84:87], a[152:153], a[8:9], v[84:87]// 000000007688: D3D70054 1D521198
	buffer_load_dwordx4 a[84:87], v37, s[84:87], 0 offen offset:1024// 000000007690: E05C1400 80955425
	v_mfma_i32_16x16x32_i8 v[84:87], a[154:155], a[10:11], v[84:87]// 000000007698: D3D70054 1D52159A
	v_mfma_i32_16x16x32_i8 v[84:87], a[156:157], a[12:13], v[84:87]// 0000000076A0: D3D70054 1D52199C
	v_mfma_i32_16x16x32_i8 v[84:87], a[158:159], a[14:15], v[84:87]// 0000000076A8: D3D70054 1D521D9E
	v_mfma_i32_16x16x32_i8 v[88:91], a[160:161], a[8:9], v[88:91]// 0000000076B0: D3D70058 1D6211A0
	buffer_load_dwordx4 a[88:91], v38, s[84:87], 0 offen       // 0000000076B8: E05C1000 80955826
	v_mfma_i32_16x16x32_i8 v[88:91], a[162:163], a[10:11], v[88:91]// 0000000076C0: D3D70058 1D6215A2
	v_mfma_i32_16x16x32_i8 v[88:91], a[164:165], a[12:13], v[88:91]// 0000000076C8: D3D70058 1D6219A4
	v_mfma_i32_16x16x32_i8 v[88:91], a[166:167], a[14:15], v[88:91]// 0000000076D0: D3D70058 1D621DA6
	v_mfma_i32_16x16x32_i8 v[92:95], a[168:169], a[8:9], v[92:95]// 0000000076D8: D3D7005C 1D7211A8
	buffer_load_dwordx4 a[92:95], v38, s[84:87], 0 offen offset:1024// 0000000076E0: E05C1400 80955C26
	v_mfma_i32_16x16x32_i8 v[92:95], a[170:171], a[10:11], v[92:95]// 0000000076E8: D3D7005C 1D7215AA
	v_mfma_i32_16x16x32_i8 v[92:95], a[172:173], a[12:13], v[92:95]// 0000000076F0: D3D7005C 1D7219AC
	v_mfma_i32_16x16x32_i8 v[92:95], a[174:175], a[14:15], v[92:95]// 0000000076F8: D3D7005C 1D721DAE
	v_mfma_i32_16x16x32_i8 v[96:99], a[176:177], a[8:9], v[96:99]// 000000007700: D3D70060 1D8211B0
	buffer_load_dwordx4 a[96:99], v39, s[84:87], 0 offen       // 000000007708: E05C1000 80956027
	v_mfma_i32_16x16x32_i8 v[96:99], a[178:179], a[10:11], v[96:99]// 000000007710: D3D70060 1D8215B2
	v_mfma_i32_16x16x32_i8 v[96:99], a[180:181], a[12:13], v[96:99]// 000000007718: D3D70060 1D8219B4
	v_mfma_i32_16x16x32_i8 v[96:99], a[182:183], a[14:15], v[96:99]// 000000007720: D3D70060 1D821DB6
	v_mfma_i32_16x16x32_i8 v[100:103], a[184:185], a[8:9], v[100:103]// 000000007728: D3D70064 1D9211B8
	buffer_load_dwordx4 a[100:103], v39, s[84:87], 0 offen offset:1024// 000000007730: E05C1400 80956427
	v_mfma_i32_16x16x32_i8 v[100:103], a[186:187], a[10:11], v[100:103]// 000000007738: D3D70064 1D9215BA
	v_mfma_i32_16x16x32_i8 v[100:103], a[188:189], a[12:13], v[100:103]// 000000007740: D3D70064 1D9219BC
	v_mfma_i32_16x16x32_i8 v[100:103], a[190:191], a[14:15], v[100:103]// 000000007748: D3D70064 1D921DBE
	v_mfma_i32_16x16x32_i8 v[104:107], a[192:193], a[8:9], v[104:107]// 000000007750: D3D70068 1DA211C0
	buffer_load_dwordx4 a[104:107], v40, s[84:87], 0 offen     // 000000007758: E05C1000 80956828
	s_add_u32 s60, 0x180, s80                                  // 000000007760: 803C50FF 00000180
	s_cmp_lt_u32 s60, s81                                      // 000000007768: BF0A513C
	s_cselect_b32 s57, s57, 0                                  // 00000000776C: 85398039
	v_mfma_i32_16x16x32_i8 v[104:107], a[194:195], a[10:11], v[104:107]// 000000007770: D3D70068 1DA215C2
	s_add_u32 s60, 0x100, s80                                  // 000000007778: 803C50FF 00000100
	s_cmp_lt_u32 s60, s81                                      // 000000007780: BF0A513C
	s_cselect_b32 s58, s58, 0                                  // 000000007784: 853A803A
	v_mfma_i32_16x16x32_i8 v[104:107], a[196:197], a[12:13], v[104:107]// 000000007788: D3D70068 1DA219C4
	s_add_u32 s60, 0x100, s80                                  // 000000007790: 803C50FF 00000100
	s_cmp_lt_u32 s60, s81                                      // 000000007798: BF0A513C
	s_cselect_b32 s83, s83, 0                                  // 00000000779C: 85538053
	v_mfma_i32_16x16x32_i8 v[104:107], a[198:199], a[14:15], v[104:107]// 0000000077A0: D3D70068 1DA21DC6
	s_add_u32 s24, s58, s24                                    // 0000000077A8: 8018183A
	s_addc_u32 s25, 0, s25                                     // 0000000077AC: 82191980
	v_mfma_i32_16x16x32_i8 v[108:111], a[200:201], a[8:9], v[108:111]// 0000000077B0: D3D7006C 1DB211C8
	buffer_load_dwordx4 a[108:111], v40, s[84:87], 0 offen offset:1024// 0000000077B8: E05C1400 80956C28
	s_add_u32 s20, s57, s20                                    // 0000000077C0: 80141439
	s_addc_u32 s21, 0, s21                                     // 0000000077C4: 82151580
	v_mfma_i32_16x16x32_i8 v[108:111], a[202:203], a[10:11], v[108:111]// 0000000077C8: D3D7006C 1DB215CA
	v_mfma_i32_16x16x32_i8 v[108:111], a[204:205], a[12:13], v[108:111]// 0000000077D0: D3D7006C 1DB219CC
	v_mfma_i32_16x16x32_i8 v[108:111], a[206:207], a[14:15], v[108:111]// 0000000077D8: D3D7006C 1DB21DCE
	buffer_load_dwordx4 a[112:115], v41, s[84:87], 0 offen     // 0000000077E0: E05C1000 80957029
	buffer_load_dwordx4 a[116:119], v41, s[84:87], 0 offen offset:1024// 0000000077E8: E05C1400 80957429
	buffer_load_dwordx4 a[120:123], v42, s[84:87], 0 offen     // 0000000077F0: E05C1000 8095782A
	buffer_load_dwordx4 a[124:127], v42, s[84:87], 0 offen offset:1024// 0000000077F8: E05C1400 80957C2A
	buffer_load_dwordx4 a[128:131], v43, s[84:87], 0 offen     // 000000007800: E05C1000 8095802B
	buffer_load_dwordx4 a[132:135], v43, s[84:87], 0 offen offset:1024// 000000007808: E05C1400 8095842B
	buffer_load_dwordx4 a[136:139], v44, s[84:87], 0 offen     // 000000007810: E05C1000 8095882C
	buffer_load_dwordx4 a[140:143], v44, s[84:87], 0 offen offset:1024// 000000007818: E05C1400 80958C2C
	s_add_u32 s84, s83, s84                                    // 000000007820: 80545453
	s_addc_u32 s85, 0, s85                                     // 000000007824: 82555580
	s_addk_i32 s80, 0x80                                       // 000000007828: B7500080
	s_cmp_lt_i32 s80, s81                                      // 00000000782C: BF045150
	s_cbranch_scc0 label_1391                                  // 000000007830: BF840001
	s_branch label_0E3E                                        // 000000007834: BF82FAAD

0000000000007838 <label_1391>:
	v_cvt_f32_i32_e32 v48, v48                                 // 000000007838: 7E600B30
	v_cvt_f32_i32_e32 v49, v49                                 // 00000000783C: 7E620B31
	v_cvt_f32_i32_e32 v50, v50                                 // 000000007840: 7E640B32
	v_cvt_f32_i32_e32 v51, v51                                 // 000000007844: 7E660B33
	v_mul_f32_dpp v48, v25, v48 row_newbcast:0 row_mask:0xf bank_mask:0xf// 000000007848: 0A6060FA FF015019
	v_mul_f32_dpp v49, v25, v49 row_newbcast:1 row_mask:0xf bank_mask:0xf// 000000007850: 0A6262FA FF015119
	v_mul_f32_dpp v50, v25, v50 row_newbcast:2 row_mask:0xf bank_mask:0xf// 000000007858: 0A6464FA FF015219
	v_mul_f32_dpp v51, v25, v51 row_newbcast:3 row_mask:0xf bank_mask:0xf// 000000007860: 0A6666FA FF015319
	v_cvt_f32_i32_e32 v52, v52                                 // 000000007868: 7E680B34
	v_cvt_f32_i32_e32 v53, v53                                 // 00000000786C: 7E6A0B35
	v_cvt_f32_i32_e32 v54, v54                                 // 000000007870: 7E6C0B36
	v_cvt_f32_i32_e32 v55, v55                                 // 000000007874: 7E6E0B37
	v_mul_f32_dpp v52, v25, v52 row_newbcast:4 row_mask:0xf bank_mask:0xf// 000000007878: 0A6868FA FF015419
	v_mul_f32_dpp v53, v25, v53 row_newbcast:5 row_mask:0xf bank_mask:0xf// 000000007880: 0A6A6AFA FF015519
	v_mul_f32_dpp v54, v25, v54 row_newbcast:6 row_mask:0xf bank_mask:0xf// 000000007888: 0A6C6CFA FF015619
	v_mul_f32_dpp v55, v25, v55 row_newbcast:7 row_mask:0xf bank_mask:0xf// 000000007890: 0A6E6EFA FF015719
	v_cvt_f32_i32_e32 v56, v56                                 // 000000007898: 7E700B38
	v_cvt_f32_i32_e32 v57, v57                                 // 00000000789C: 7E720B39
	v_cvt_f32_i32_e32 v58, v58                                 // 0000000078A0: 7E740B3A
	v_cvt_f32_i32_e32 v59, v59                                 // 0000000078A4: 7E760B3B
	v_mul_f32_dpp v56, v25, v56 row_newbcast:8 row_mask:0xf bank_mask:0xf// 0000000078A8: 0A7070FA FF015819
	v_mul_f32_dpp v57, v25, v57 row_newbcast:9 row_mask:0xf bank_mask:0xf// 0000000078B0: 0A7272FA FF015919
	v_mul_f32_dpp v58, v25, v58 row_newbcast:10 row_mask:0xf bank_mask:0xf// 0000000078B8: 0A7474FA FF015A19
	v_mul_f32_dpp v59, v25, v59 row_newbcast:11 row_mask:0xf bank_mask:0xf// 0000000078C0: 0A7676FA FF015B19
	v_cvt_f32_i32_e32 v60, v60                                 // 0000000078C8: 7E780B3C
	v_cvt_f32_i32_e32 v61, v61                                 // 0000000078CC: 7E7A0B3D
	v_cvt_f32_i32_e32 v62, v62                                 // 0000000078D0: 7E7C0B3E
	v_cvt_f32_i32_e32 v63, v63                                 // 0000000078D4: 7E7E0B3F
	v_mul_f32_dpp v60, v25, v60 row_newbcast:12 row_mask:0xf bank_mask:0xf// 0000000078D8: 0A7878FA FF015C19
	v_mul_f32_dpp v61, v25, v61 row_newbcast:13 row_mask:0xf bank_mask:0xf// 0000000078E0: 0A7A7AFA FF015D19
	v_mul_f32_dpp v62, v25, v62 row_newbcast:14 row_mask:0xf bank_mask:0xf// 0000000078E8: 0A7C7CFA FF015E19
	v_mul_f32_dpp v63, v25, v63 row_newbcast:15 row_mask:0xf bank_mask:0xf// 0000000078F0: 0A7E7EFA FF015F19
	v_cvt_f32_i32_e32 v64, v64                                 // 0000000078F8: 7E800B40
	v_cvt_f32_i32_e32 v65, v65                                 // 0000000078FC: 7E820B41
	v_cvt_f32_i32_e32 v66, v66                                 // 000000007900: 7E840B42
	v_cvt_f32_i32_e32 v67, v67                                 // 000000007904: 7E860B43
	v_mul_f32_dpp v64, v26, v64 row_newbcast:0 row_mask:0xf bank_mask:0xf// 000000007908: 0A8080FA FF01501A
	v_mul_f32_dpp v65, v26, v65 row_newbcast:1 row_mask:0xf bank_mask:0xf// 000000007910: 0A8282FA FF01511A
	v_mul_f32_dpp v66, v26, v66 row_newbcast:2 row_mask:0xf bank_mask:0xf// 000000007918: 0A8484FA FF01521A
	v_mul_f32_dpp v67, v26, v67 row_newbcast:3 row_mask:0xf bank_mask:0xf// 000000007920: 0A8686FA FF01531A
	v_cvt_f32_i32_e32 v68, v68                                 // 000000007928: 7E880B44
	v_cvt_f32_i32_e32 v69, v69                                 // 00000000792C: 7E8A0B45
	v_cvt_f32_i32_e32 v70, v70                                 // 000000007930: 7E8C0B46
	v_cvt_f32_i32_e32 v71, v71                                 // 000000007934: 7E8E0B47
	v_mul_f32_dpp v68, v26, v68 row_newbcast:4 row_mask:0xf bank_mask:0xf// 000000007938: 0A8888FA FF01541A
	v_mul_f32_dpp v69, v26, v69 row_newbcast:5 row_mask:0xf bank_mask:0xf// 000000007940: 0A8A8AFA FF01551A
	v_mul_f32_dpp v70, v26, v70 row_newbcast:6 row_mask:0xf bank_mask:0xf// 000000007948: 0A8C8CFA FF01561A
	v_mul_f32_dpp v71, v26, v71 row_newbcast:7 row_mask:0xf bank_mask:0xf// 000000007950: 0A8E8EFA FF01571A
	v_cvt_f32_i32_e32 v72, v72                                 // 000000007958: 7E900B48
	v_cvt_f32_i32_e32 v73, v73                                 // 00000000795C: 7E920B49
	v_cvt_f32_i32_e32 v74, v74                                 // 000000007960: 7E940B4A
	v_cvt_f32_i32_e32 v75, v75                                 // 000000007964: 7E960B4B
	v_mul_f32_dpp v72, v26, v72 row_newbcast:8 row_mask:0xf bank_mask:0xf// 000000007968: 0A9090FA FF01581A
	v_mul_f32_dpp v73, v26, v73 row_newbcast:9 row_mask:0xf bank_mask:0xf// 000000007970: 0A9292FA FF01591A
	v_mul_f32_dpp v74, v26, v74 row_newbcast:10 row_mask:0xf bank_mask:0xf// 000000007978: 0A9494FA FF015A1A
	v_mul_f32_dpp v75, v26, v75 row_newbcast:11 row_mask:0xf bank_mask:0xf// 000000007980: 0A9696FA FF015B1A
	v_cvt_f32_i32_e32 v76, v76                                 // 000000007988: 7E980B4C
	v_cvt_f32_i32_e32 v77, v77                                 // 00000000798C: 7E9A0B4D
	v_cvt_f32_i32_e32 v78, v78                                 // 000000007990: 7E9C0B4E
	v_cvt_f32_i32_e32 v79, v79                                 // 000000007994: 7E9E0B4F
	v_mul_f32_dpp v76, v26, v76 row_newbcast:12 row_mask:0xf bank_mask:0xf// 000000007998: 0A9898FA FF015C1A
	v_mul_f32_dpp v77, v26, v77 row_newbcast:13 row_mask:0xf bank_mask:0xf// 0000000079A0: 0A9A9AFA FF015D1A
	v_mul_f32_dpp v78, v26, v78 row_newbcast:14 row_mask:0xf bank_mask:0xf// 0000000079A8: 0A9C9CFA FF015E1A
	v_mul_f32_dpp v79, v26, v79 row_newbcast:15 row_mask:0xf bank_mask:0xf// 0000000079B0: 0A9E9EFA FF015F1A
	v_cvt_f32_i32_e32 v80, v80                                 // 0000000079B8: 7EA00B50
	v_cvt_f32_i32_e32 v81, v81                                 // 0000000079BC: 7EA20B51
	v_cvt_f32_i32_e32 v82, v82                                 // 0000000079C0: 7EA40B52
	v_cvt_f32_i32_e32 v83, v83                                 // 0000000079C4: 7EA60B53
	v_mul_f32_dpp v80, v28, v80 row_newbcast:0 row_mask:0xf bank_mask:0xf// 0000000079C8: 0AA0A0FA FF01501C
	v_mul_f32_dpp v81, v28, v81 row_newbcast:1 row_mask:0xf bank_mask:0xf// 0000000079D0: 0AA2A2FA FF01511C
	v_mul_f32_dpp v82, v28, v82 row_newbcast:2 row_mask:0xf bank_mask:0xf// 0000000079D8: 0AA4A4FA FF01521C
	v_mul_f32_dpp v83, v28, v83 row_newbcast:3 row_mask:0xf bank_mask:0xf// 0000000079E0: 0AA6A6FA FF01531C
	v_cvt_f32_i32_e32 v84, v84                                 // 0000000079E8: 7EA80B54
	v_cvt_f32_i32_e32 v85, v85                                 // 0000000079EC: 7EAA0B55
	v_cvt_f32_i32_e32 v86, v86                                 // 0000000079F0: 7EAC0B56
	v_cvt_f32_i32_e32 v87, v87                                 // 0000000079F4: 7EAE0B57
	v_mul_f32_dpp v84, v28, v84 row_newbcast:4 row_mask:0xf bank_mask:0xf// 0000000079F8: 0AA8A8FA FF01541C
	v_mul_f32_dpp v85, v28, v85 row_newbcast:5 row_mask:0xf bank_mask:0xf// 000000007A00: 0AAAAAFA FF01551C
	v_mul_f32_dpp v86, v28, v86 row_newbcast:6 row_mask:0xf bank_mask:0xf// 000000007A08: 0AACACFA FF01561C
	v_mul_f32_dpp v87, v28, v87 row_newbcast:7 row_mask:0xf bank_mask:0xf// 000000007A10: 0AAEAEFA FF01571C
	v_cvt_f32_i32_e32 v88, v88                                 // 000000007A18: 7EB00B58
	v_cvt_f32_i32_e32 v89, v89                                 // 000000007A1C: 7EB20B59
	v_cvt_f32_i32_e32 v90, v90                                 // 000000007A20: 7EB40B5A
	v_cvt_f32_i32_e32 v91, v91                                 // 000000007A24: 7EB60B5B
	v_mul_f32_dpp v88, v28, v88 row_newbcast:8 row_mask:0xf bank_mask:0xf// 000000007A28: 0AB0B0FA FF01581C
	v_mul_f32_dpp v89, v28, v89 row_newbcast:9 row_mask:0xf bank_mask:0xf// 000000007A30: 0AB2B2FA FF01591C
	v_mul_f32_dpp v90, v28, v90 row_newbcast:10 row_mask:0xf bank_mask:0xf// 000000007A38: 0AB4B4FA FF015A1C
	v_mul_f32_dpp v91, v28, v91 row_newbcast:11 row_mask:0xf bank_mask:0xf// 000000007A40: 0AB6B6FA FF015B1C
	v_cvt_f32_i32_e32 v92, v92                                 // 000000007A48: 7EB80B5C
	v_cvt_f32_i32_e32 v93, v93                                 // 000000007A4C: 7EBA0B5D
	v_cvt_f32_i32_e32 v94, v94                                 // 000000007A50: 7EBC0B5E
	v_cvt_f32_i32_e32 v95, v95                                 // 000000007A54: 7EBE0B5F
	v_mul_f32_dpp v92, v28, v92 row_newbcast:12 row_mask:0xf bank_mask:0xf// 000000007A58: 0AB8B8FA FF015C1C
	v_mul_f32_dpp v93, v28, v93 row_newbcast:13 row_mask:0xf bank_mask:0xf// 000000007A60: 0ABABAFA FF015D1C
	v_mul_f32_dpp v94, v28, v94 row_newbcast:14 row_mask:0xf bank_mask:0xf// 000000007A68: 0ABCBCFA FF015E1C
	v_mul_f32_dpp v95, v28, v95 row_newbcast:15 row_mask:0xf bank_mask:0xf// 000000007A70: 0ABEBEFA FF015F1C
	v_cvt_f32_i32_e32 v96, v96                                 // 000000007A78: 7EC00B60
	v_cvt_f32_i32_e32 v97, v97                                 // 000000007A7C: 7EC20B61
	v_cvt_f32_i32_e32 v98, v98                                 // 000000007A80: 7EC40B62
	v_cvt_f32_i32_e32 v99, v99                                 // 000000007A84: 7EC60B63
	v_mul_f32_dpp v96, v29, v96 row_newbcast:0 row_mask:0xf bank_mask:0xf// 000000007A88: 0AC0C0FA FF01501D
	v_mul_f32_dpp v97, v29, v97 row_newbcast:1 row_mask:0xf bank_mask:0xf// 000000007A90: 0AC2C2FA FF01511D
	v_mul_f32_dpp v98, v29, v98 row_newbcast:2 row_mask:0xf bank_mask:0xf// 000000007A98: 0AC4C4FA FF01521D
	v_mul_f32_dpp v99, v29, v99 row_newbcast:3 row_mask:0xf bank_mask:0xf// 000000007AA0: 0AC6C6FA FF01531D
	v_cvt_f32_i32_e32 v100, v100                               // 000000007AA8: 7EC80B64
	v_cvt_f32_i32_e32 v101, v101                               // 000000007AAC: 7ECA0B65
	v_cvt_f32_i32_e32 v102, v102                               // 000000007AB0: 7ECC0B66
	v_cvt_f32_i32_e32 v103, v103                               // 000000007AB4: 7ECE0B67
	v_mul_f32_dpp v100, v29, v100 row_newbcast:4 row_mask:0xf bank_mask:0xf// 000000007AB8: 0AC8C8FA FF01541D
	v_mul_f32_dpp v101, v29, v101 row_newbcast:5 row_mask:0xf bank_mask:0xf// 000000007AC0: 0ACACAFA FF01551D
	v_mul_f32_dpp v102, v29, v102 row_newbcast:6 row_mask:0xf bank_mask:0xf// 000000007AC8: 0ACCCCFA FF01561D
	v_mul_f32_dpp v103, v29, v103 row_newbcast:7 row_mask:0xf bank_mask:0xf// 000000007AD0: 0ACECEFA FF01571D
	v_cvt_f32_i32_e32 v104, v104                               // 000000007AD8: 7ED00B68
	v_cvt_f32_i32_e32 v105, v105                               // 000000007ADC: 7ED20B69
	v_cvt_f32_i32_e32 v106, v106                               // 000000007AE0: 7ED40B6A
	v_cvt_f32_i32_e32 v107, v107                               // 000000007AE4: 7ED60B6B
	v_mul_f32_dpp v104, v29, v104 row_newbcast:8 row_mask:0xf bank_mask:0xf// 000000007AE8: 0AD0D0FA FF01581D
	v_mul_f32_dpp v105, v29, v105 row_newbcast:9 row_mask:0xf bank_mask:0xf// 000000007AF0: 0AD2D2FA FF01591D
	v_mul_f32_dpp v106, v29, v106 row_newbcast:10 row_mask:0xf bank_mask:0xf// 000000007AF8: 0AD4D4FA FF015A1D
	v_mul_f32_dpp v107, v29, v107 row_newbcast:11 row_mask:0xf bank_mask:0xf// 000000007B00: 0AD6D6FA FF015B1D
	v_cvt_f32_i32_e32 v108, v108                               // 000000007B08: 7ED80B6C
	v_cvt_f32_i32_e32 v109, v109                               // 000000007B0C: 7EDA0B6D
	v_cvt_f32_i32_e32 v110, v110                               // 000000007B10: 7EDC0B6E
	v_cvt_f32_i32_e32 v111, v111                               // 000000007B14: 7EDE0B6F
	v_mul_f32_dpp v108, v29, v108 row_newbcast:12 row_mask:0xf bank_mask:0xf// 000000007B18: 0AD8D8FA FF015C1D
	v_mul_f32_dpp v109, v29, v109 row_newbcast:13 row_mask:0xf bank_mask:0xf// 000000007B20: 0ADADAFA FF015D1D
	v_mul_f32_dpp v110, v29, v110 row_newbcast:14 row_mask:0xf bank_mask:0xf// 000000007B28: 0ADCDCFA FF015E1D
	v_mul_f32_dpp v111, v29, v111 row_newbcast:15 row_mask:0xf bank_mask:0xf// 000000007B30: 0ADEDEFA FF015F1D
	v_mov_b32_e32 v4, v32                                      // 000000007B38: 7E080320
	v_mov_b32_e32 v5, v4                                       // 000000007B3C: 7E0A0304
	v_pk_mul_f32 v[48:49], v[4:5], v[48:49]                    // 000000007B40: D3B14030 18026104
	v_pk_mul_f32 v[80:81], v[4:5], v[80:81]                    // 000000007B48: D3B14050 1802A104
	v_pk_mul_f32 v[50:51], v[4:5], v[50:51]                    // 000000007B50: D3B14032 18026504
	v_pk_mul_f32 v[82:83], v[4:5], v[82:83]                    // 000000007B58: D3B14052 1802A504
	v_pk_mul_f32 v[52:53], v[4:5], v[52:53]                    // 000000007B60: D3B14034 18026904
	v_pk_mul_f32 v[84:85], v[4:5], v[84:85]                    // 000000007B68: D3B14054 1802A904
	v_pk_mul_f32 v[54:55], v[4:5], v[54:55]                    // 000000007B70: D3B14036 18026D04
	v_pk_mul_f32 v[86:87], v[4:5], v[86:87]                    // 000000007B78: D3B14056 1802AD04
	v_pk_mul_f32 v[56:57], v[4:5], v[56:57]                    // 000000007B80: D3B14038 18027104
	v_pk_mul_f32 v[88:89], v[4:5], v[88:89]                    // 000000007B88: D3B14058 1802B104
	v_pk_mul_f32 v[58:59], v[4:5], v[58:59]                    // 000000007B90: D3B1403A 18027504
	v_pk_mul_f32 v[90:91], v[4:5], v[90:91]                    // 000000007B98: D3B1405A 1802B504
	v_pk_mul_f32 v[60:61], v[4:5], v[60:61]                    // 000000007BA0: D3B1403C 18027904
	v_pk_mul_f32 v[92:93], v[4:5], v[92:93]                    // 000000007BA8: D3B1405C 1802B904
	v_pk_mul_f32 v[62:63], v[4:5], v[62:63]                    // 000000007BB0: D3B1403E 18027D04
	v_pk_mul_f32 v[94:95], v[4:5], v[94:95]                    // 000000007BB8: D3B1405E 1802BD04
	v_pk_mul_f32 v[64:65], v[4:5], v[64:65]                    // 000000007BC0: D3B14040 18028104
	v_pk_mul_f32 v[96:97], v[4:5], v[96:97]                    // 000000007BC8: D3B14060 1802C104
	v_pk_mul_f32 v[66:67], v[4:5], v[66:67]                    // 000000007BD0: D3B14042 18028504
	v_pk_mul_f32 v[98:99], v[4:5], v[98:99]                    // 000000007BD8: D3B14062 1802C504
	v_pk_mul_f32 v[68:69], v[4:5], v[68:69]                    // 000000007BE0: D3B14044 18028904
	v_pk_mul_f32 v[100:101], v[4:5], v[100:101]                // 000000007BE8: D3B14064 1802C904
	v_pk_mul_f32 v[70:71], v[4:5], v[70:71]                    // 000000007BF0: D3B14046 18028D04
	v_pk_mul_f32 v[102:103], v[4:5], v[102:103]                // 000000007BF8: D3B14066 1802CD04
	v_pk_mul_f32 v[72:73], v[4:5], v[72:73]                    // 000000007C00: D3B14048 18029104
	v_pk_mul_f32 v[104:105], v[4:5], v[104:105]                // 000000007C08: D3B14068 1802D104
	v_pk_mul_f32 v[74:75], v[4:5], v[74:75]                    // 000000007C10: D3B1404A 18029504
	v_pk_mul_f32 v[106:107], v[4:5], v[106:107]                // 000000007C18: D3B1406A 1802D504
	v_pk_mul_f32 v[76:77], v[4:5], v[76:77]                    // 000000007C20: D3B1404C 18029904
	v_pk_mul_f32 v[108:109], v[4:5], v[108:109]                // 000000007C28: D3B1406C 1802D904
	v_pk_mul_f32 v[78:79], v[4:5], v[78:79]                    // 000000007C30: D3B1404E 18029D04
	v_pk_mul_f32 v[110:111], v[4:5], v[110:111]                // 000000007C38: D3B1406E 1802DD04
	s_cmp_eq_u32 s88, 0                                        // 000000007C40: BF068058
	s_cbranch_scc0 label_1872                                  // 000000007C44: BF8403DD
	s_cmp_eq_u32 s89, 0                                        // 000000007C48: BF068059
	s_cbranch_scc1 label_15DC                                  // 000000007C4C: BF850145
	v_mov_b32_e32 v8, v1                                       // 000000007C50: 7E100301
	v_mov_b32_e32 v9, v1                                       // 000000007C54: 7E120301
	s_mov_b32 s60, s6                                          // 000000007C58: BEBC0006
	s_mov_b32 s61, s6                                          // 000000007C5C: BEBD0006
	v_pk_mul_f32 v[4:5], v[48:49], v[48:49]                    // 000000007C60: D3B14004 18026130
	v_pk_mul_f32 v[6:7], v[50:51], v[50:51]                    // 000000007C68: D3B14006 18026532
	v_pk_fma_f32 v[4:5], v[4:5], s[78:79], v[8:9]              // 000000007C70: D3B04004 1C209D04
	v_pk_fma_f32 v[6:7], v[6:7], s[78:79], v[8:9]              // 000000007C78: D3B04006 1C209D06
	v_pk_mul_f32 v[4:5], v[4:5], v[48:49]                      // 000000007C80: D3B14004 18026104
	v_pk_mul_f32 v[6:7], v[6:7], v[50:51]                      // 000000007C88: D3B14006 18026506
	v_pk_mul_f32 v[4:5], v[4:5], s[60:61]                      // 000000007C90: D3B14004 18007904
	v_pk_mul_f32 v[6:7], v[6:7], s[60:61]                      // 000000007C98: D3B14006 18007906
	v_exp_f32_e32 v4, v4                                       // 000000007CA0: 7E084104
	v_exp_f32_e32 v5, v5                                       // 000000007CA4: 7E0A4105
	v_exp_f32_e32 v6, v6                                       // 000000007CA8: 7E0C4106
	v_exp_f32_e32 v7, v7                                       // 000000007CAC: 7E0E4107
	v_add_f32_e64 v4, v4, 1.0                                  // 000000007CB0: D1010004 0001E504
	v_add_f32_e64 v5, v5, 1.0                                  // 000000007CB8: D1010005 0001E505
	v_add_f32_e64 v6, v6, 1.0                                  // 000000007CC0: D1010006 0001E506
	v_add_f32_e64 v7, v7, 1.0                                  // 000000007CC8: D1010007 0001E507
	v_rcp_f32_e32 v4, v4                                       // 000000007CD0: 7E084504
	v_rcp_f32_e32 v5, v5                                       // 000000007CD4: 7E0A4505
	v_rcp_f32_e32 v6, v6                                       // 000000007CD8: 7E0C4506
	v_rcp_f32_e32 v7, v7                                       // 000000007CDC: 7E0E4507
	v_mul_f32_e32 v48, v48, v4                                 // 000000007CE0: 0A600930
	v_mul_f32_e32 v49, v49, v5                                 // 000000007CE4: 0A620B31
	v_mul_f32_e32 v50, v50, v6                                 // 000000007CE8: 0A640D32
	v_mul_f32_e32 v51, v51, v7                                 // 000000007CEC: 0A660F33
	v_mul_f32_e32 v48, v48, v80                                // 000000007CF0: 0A60A130
	v_mul_f32_e32 v49, v49, v81                                // 000000007CF4: 0A62A331
	v_mul_f32_e32 v50, v50, v82                                // 000000007CF8: 0A64A532
	v_mul_f32_e32 v51, v51, v83                                // 000000007CFC: 0A66A733
	v_pk_mul_f32 v[4:5], v[52:53], v[52:53]                    // 000000007D00: D3B14004 18026934
	v_pk_mul_f32 v[6:7], v[54:55], v[54:55]                    // 000000007D08: D3B14006 18026D36
	v_pk_fma_f32 v[4:5], v[4:5], s[78:79], v[8:9]              // 000000007D10: D3B04004 1C209D04
	v_pk_fma_f32 v[6:7], v[6:7], s[78:79], v[8:9]              // 000000007D18: D3B04006 1C209D06
	v_pk_mul_f32 v[4:5], v[4:5], v[52:53]                      // 000000007D20: D3B14004 18026904
	v_pk_mul_f32 v[6:7], v[6:7], v[54:55]                      // 000000007D28: D3B14006 18026D06
	v_pk_mul_f32 v[4:5], v[4:5], s[60:61]                      // 000000007D30: D3B14004 18007904
	v_pk_mul_f32 v[6:7], v[6:7], s[60:61]                      // 000000007D38: D3B14006 18007906
	v_exp_f32_e32 v4, v4                                       // 000000007D40: 7E084104
	v_exp_f32_e32 v5, v5                                       // 000000007D44: 7E0A4105
	v_exp_f32_e32 v6, v6                                       // 000000007D48: 7E0C4106
	v_exp_f32_e32 v7, v7                                       // 000000007D4C: 7E0E4107
	v_add_f32_e64 v4, v4, 1.0                                  // 000000007D50: D1010004 0001E504
	v_add_f32_e64 v5, v5, 1.0                                  // 000000007D58: D1010005 0001E505
	v_add_f32_e64 v6, v6, 1.0                                  // 000000007D60: D1010006 0001E506
	v_add_f32_e64 v7, v7, 1.0                                  // 000000007D68: D1010007 0001E507
	v_rcp_f32_e32 v4, v4                                       // 000000007D70: 7E084504
	v_rcp_f32_e32 v5, v5                                       // 000000007D74: 7E0A4505
	v_rcp_f32_e32 v6, v6                                       // 000000007D78: 7E0C4506
	v_rcp_f32_e32 v7, v7                                       // 000000007D7C: 7E0E4507
	v_mul_f32_e32 v52, v52, v4                                 // 000000007D80: 0A680934
	v_mul_f32_e32 v53, v53, v5                                 // 000000007D84: 0A6A0B35
	v_mul_f32_e32 v54, v54, v6                                 // 000000007D88: 0A6C0D36
	v_mul_f32_e32 v55, v55, v7                                 // 000000007D8C: 0A6E0F37
	v_mul_f32_e32 v52, v52, v84                                // 000000007D90: 0A68A934
	v_mul_f32_e32 v53, v53, v85                                // 000000007D94: 0A6AAB35
	v_mul_f32_e32 v54, v54, v86                                // 000000007D98: 0A6CAD36
	v_mul_f32_e32 v55, v55, v87                                // 000000007D9C: 0A6EAF37
	v_pk_mul_f32 v[4:5], v[56:57], v[56:57]                    // 000000007DA0: D3B14004 18027138
	v_pk_mul_f32 v[6:7], v[58:59], v[58:59]                    // 000000007DA8: D3B14006 1802753A
	v_pk_fma_f32 v[4:5], v[4:5], s[78:79], v[8:9]              // 000000007DB0: D3B04004 1C209D04
	v_pk_fma_f32 v[6:7], v[6:7], s[78:79], v[8:9]              // 000000007DB8: D3B04006 1C209D06
	v_pk_mul_f32 v[4:5], v[4:5], v[56:57]                      // 000000007DC0: D3B14004 18027104
	v_pk_mul_f32 v[6:7], v[6:7], v[58:59]                      // 000000007DC8: D3B14006 18027506
	v_pk_mul_f32 v[4:5], v[4:5], s[60:61]                      // 000000007DD0: D3B14004 18007904
	v_pk_mul_f32 v[6:7], v[6:7], s[60:61]                      // 000000007DD8: D3B14006 18007906
	v_exp_f32_e32 v4, v4                                       // 000000007DE0: 7E084104
	v_exp_f32_e32 v5, v5                                       // 000000007DE4: 7E0A4105
	v_exp_f32_e32 v6, v6                                       // 000000007DE8: 7E0C4106
	v_exp_f32_e32 v7, v7                                       // 000000007DEC: 7E0E4107
	v_add_f32_e64 v4, v4, 1.0                                  // 000000007DF0: D1010004 0001E504
	v_add_f32_e64 v5, v5, 1.0                                  // 000000007DF8: D1010005 0001E505
	v_add_f32_e64 v6, v6, 1.0                                  // 000000007E00: D1010006 0001E506
	v_add_f32_e64 v7, v7, 1.0                                  // 000000007E08: D1010007 0001E507
	v_rcp_f32_e32 v4, v4                                       // 000000007E10: 7E084504
	v_rcp_f32_e32 v5, v5                                       // 000000007E14: 7E0A4505
	v_rcp_f32_e32 v6, v6                                       // 000000007E18: 7E0C4506
	v_rcp_f32_e32 v7, v7                                       // 000000007E1C: 7E0E4507
	v_mul_f32_e32 v56, v56, v4                                 // 000000007E20: 0A700938
	v_mul_f32_e32 v57, v57, v5                                 // 000000007E24: 0A720B39
	v_mul_f32_e32 v58, v58, v6                                 // 000000007E28: 0A740D3A
	v_mul_f32_e32 v59, v59, v7                                 // 000000007E2C: 0A760F3B
	v_mul_f32_e32 v56, v56, v88                                // 000000007E30: 0A70B138
	v_mul_f32_e32 v57, v57, v89                                // 000000007E34: 0A72B339
	v_mul_f32_e32 v58, v58, v90                                // 000000007E38: 0A74B53A
	v_mul_f32_e32 v59, v59, v91                                // 000000007E3C: 0A76B73B
	v_pk_mul_f32 v[4:5], v[60:61], v[60:61]                    // 000000007E40: D3B14004 1802793C
	v_pk_mul_f32 v[6:7], v[62:63], v[62:63]                    // 000000007E48: D3B14006 18027D3E
	v_pk_fma_f32 v[4:5], v[4:5], s[78:79], v[8:9]              // 000000007E50: D3B04004 1C209D04
	v_pk_fma_f32 v[6:7], v[6:7], s[78:79], v[8:9]              // 000000007E58: D3B04006 1C209D06
	v_pk_mul_f32 v[4:5], v[4:5], v[60:61]                      // 000000007E60: D3B14004 18027904
	v_pk_mul_f32 v[6:7], v[6:7], v[62:63]                      // 000000007E68: D3B14006 18027D06
	v_pk_mul_f32 v[4:5], v[4:5], s[60:61]                      // 000000007E70: D3B14004 18007904
	v_pk_mul_f32 v[6:7], v[6:7], s[60:61]                      // 000000007E78: D3B14006 18007906
	v_exp_f32_e32 v4, v4                                       // 000000007E80: 7E084104
	v_exp_f32_e32 v5, v5                                       // 000000007E84: 7E0A4105
	v_exp_f32_e32 v6, v6                                       // 000000007E88: 7E0C4106
	v_exp_f32_e32 v7, v7                                       // 000000007E8C: 7E0E4107
	v_add_f32_e64 v4, v4, 1.0                                  // 000000007E90: D1010004 0001E504
	v_add_f32_e64 v5, v5, 1.0                                  // 000000007E98: D1010005 0001E505
	v_add_f32_e64 v6, v6, 1.0                                  // 000000007EA0: D1010006 0001E506
	v_add_f32_e64 v7, v7, 1.0                                  // 000000007EA8: D1010007 0001E507
	v_rcp_f32_e32 v4, v4                                       // 000000007EB0: 7E084504
	v_rcp_f32_e32 v5, v5                                       // 000000007EB4: 7E0A4505
	v_rcp_f32_e32 v6, v6                                       // 000000007EB8: 7E0C4506
	v_rcp_f32_e32 v7, v7                                       // 000000007EBC: 7E0E4507
	v_mul_f32_e32 v60, v60, v4                                 // 000000007EC0: 0A78093C
	v_mul_f32_e32 v61, v61, v5                                 // 000000007EC4: 0A7A0B3D
	v_mul_f32_e32 v62, v62, v6                                 // 000000007EC8: 0A7C0D3E
	v_mul_f32_e32 v63, v63, v7                                 // 000000007ECC: 0A7E0F3F
	v_mul_f32_e32 v60, v60, v92                                // 000000007ED0: 0A78B93C
	v_mul_f32_e32 v61, v61, v93                                // 000000007ED4: 0A7ABB3D
	v_mul_f32_e32 v62, v62, v94                                // 000000007ED8: 0A7CBD3E
	v_mul_f32_e32 v63, v63, v95                                // 000000007EDC: 0A7EBF3F
	v_pk_mul_f32 v[4:5], v[64:65], v[64:65]                    // 000000007EE0: D3B14004 18028140
	v_pk_mul_f32 v[6:7], v[66:67], v[66:67]                    // 000000007EE8: D3B14006 18028542
	v_pk_fma_f32 v[4:5], v[4:5], s[78:79], v[8:9]              // 000000007EF0: D3B04004 1C209D04
	v_pk_fma_f32 v[6:7], v[6:7], s[78:79], v[8:9]              // 000000007EF8: D3B04006 1C209D06
	v_pk_mul_f32 v[4:5], v[4:5], v[64:65]                      // 000000007F00: D3B14004 18028104
	v_pk_mul_f32 v[6:7], v[6:7], v[66:67]                      // 000000007F08: D3B14006 18028506
	v_pk_mul_f32 v[4:5], v[4:5], s[60:61]                      // 000000007F10: D3B14004 18007904
	v_pk_mul_f32 v[6:7], v[6:7], s[60:61]                      // 000000007F18: D3B14006 18007906
	v_exp_f32_e32 v4, v4                                       // 000000007F20: 7E084104
	v_exp_f32_e32 v5, v5                                       // 000000007F24: 7E0A4105
	v_exp_f32_e32 v6, v6                                       // 000000007F28: 7E0C4106
	v_exp_f32_e32 v7, v7                                       // 000000007F2C: 7E0E4107
	v_add_f32_e64 v4, v4, 1.0                                  // 000000007F30: D1010004 0001E504
	v_add_f32_e64 v5, v5, 1.0                                  // 000000007F38: D1010005 0001E505
	v_add_f32_e64 v6, v6, 1.0                                  // 000000007F40: D1010006 0001E506
	v_add_f32_e64 v7, v7, 1.0                                  // 000000007F48: D1010007 0001E507
	v_rcp_f32_e32 v4, v4                                       // 000000007F50: 7E084504
	v_rcp_f32_e32 v5, v5                                       // 000000007F54: 7E0A4505
	v_rcp_f32_e32 v6, v6                                       // 000000007F58: 7E0C4506
	v_rcp_f32_e32 v7, v7                                       // 000000007F5C: 7E0E4507
	v_mul_f32_e32 v64, v64, v4                                 // 000000007F60: 0A800940
	v_mul_f32_e32 v65, v65, v5                                 // 000000007F64: 0A820B41
	v_mul_f32_e32 v66, v66, v6                                 // 000000007F68: 0A840D42
	v_mul_f32_e32 v67, v67, v7                                 // 000000007F6C: 0A860F43
	v_mul_f32_e32 v64, v64, v96                                // 000000007F70: 0A80C140
	v_mul_f32_e32 v65, v65, v97                                // 000000007F74: 0A82C341
	v_mul_f32_e32 v66, v66, v98                                // 000000007F78: 0A84C542
	v_mul_f32_e32 v67, v67, v99                                // 000000007F7C: 0A86C743
	v_pk_mul_f32 v[4:5], v[68:69], v[68:69]                    // 000000007F80: D3B14004 18028944
	v_pk_mul_f32 v[6:7], v[70:71], v[70:71]                    // 000000007F88: D3B14006 18028D46
	v_pk_fma_f32 v[4:5], v[4:5], s[78:79], v[8:9]              // 000000007F90: D3B04004 1C209D04
	v_pk_fma_f32 v[6:7], v[6:7], s[78:79], v[8:9]              // 000000007F98: D3B04006 1C209D06
	v_pk_mul_f32 v[4:5], v[4:5], v[68:69]                      // 000000007FA0: D3B14004 18028904
	v_pk_mul_f32 v[6:7], v[6:7], v[70:71]                      // 000000007FA8: D3B14006 18028D06
	v_pk_mul_f32 v[4:5], v[4:5], s[60:61]                      // 000000007FB0: D3B14004 18007904
	v_pk_mul_f32 v[6:7], v[6:7], s[60:61]                      // 000000007FB8: D3B14006 18007906
	v_exp_f32_e32 v4, v4                                       // 000000007FC0: 7E084104
	v_exp_f32_e32 v5, v5                                       // 000000007FC4: 7E0A4105
	v_exp_f32_e32 v6, v6                                       // 000000007FC8: 7E0C4106
	v_exp_f32_e32 v7, v7                                       // 000000007FCC: 7E0E4107
	v_add_f32_e64 v4, v4, 1.0                                  // 000000007FD0: D1010004 0001E504
	v_add_f32_e64 v5, v5, 1.0                                  // 000000007FD8: D1010005 0001E505
	v_add_f32_e64 v6, v6, 1.0                                  // 000000007FE0: D1010006 0001E506
	v_add_f32_e64 v7, v7, 1.0                                  // 000000007FE8: D1010007 0001E507
	v_rcp_f32_e32 v4, v4                                       // 000000007FF0: 7E084504
	v_rcp_f32_e32 v5, v5                                       // 000000007FF4: 7E0A4505
	v_rcp_f32_e32 v6, v6                                       // 000000007FF8: 7E0C4506
	v_rcp_f32_e32 v7, v7                                       // 000000007FFC: 7E0E4507
	v_mul_f32_e32 v68, v68, v4                                 // 000000008000: 0A880944
	v_mul_f32_e32 v69, v69, v5                                 // 000000008004: 0A8A0B45
	v_mul_f32_e32 v70, v70, v6                                 // 000000008008: 0A8C0D46
	v_mul_f32_e32 v71, v71, v7                                 // 00000000800C: 0A8E0F47
	v_mul_f32_e32 v68, v68, v100                               // 000000008010: 0A88C944
	v_mul_f32_e32 v69, v69, v101                               // 000000008014: 0A8ACB45
	v_mul_f32_e32 v70, v70, v102                               // 000000008018: 0A8CCD46
	v_mul_f32_e32 v71, v71, v103                               // 00000000801C: 0A8ECF47
	v_pk_mul_f32 v[4:5], v[72:73], v[72:73]                    // 000000008020: D3B14004 18029148
	v_pk_mul_f32 v[6:7], v[74:75], v[74:75]                    // 000000008028: D3B14006 1802954A
	v_pk_fma_f32 v[4:5], v[4:5], s[78:79], v[8:9]              // 000000008030: D3B04004 1C209D04
	v_pk_fma_f32 v[6:7], v[6:7], s[78:79], v[8:9]              // 000000008038: D3B04006 1C209D06
	v_pk_mul_f32 v[4:5], v[4:5], v[72:73]                      // 000000008040: D3B14004 18029104
	v_pk_mul_f32 v[6:7], v[6:7], v[74:75]                      // 000000008048: D3B14006 18029506
	v_pk_mul_f32 v[4:5], v[4:5], s[60:61]                      // 000000008050: D3B14004 18007904
	v_pk_mul_f32 v[6:7], v[6:7], s[60:61]                      // 000000008058: D3B14006 18007906
	v_exp_f32_e32 v4, v4                                       // 000000008060: 7E084104
	v_exp_f32_e32 v5, v5                                       // 000000008064: 7E0A4105
	v_exp_f32_e32 v6, v6                                       // 000000008068: 7E0C4106
	v_exp_f32_e32 v7, v7                                       // 00000000806C: 7E0E4107
	v_add_f32_e64 v4, v4, 1.0                                  // 000000008070: D1010004 0001E504
	v_add_f32_e64 v5, v5, 1.0                                  // 000000008078: D1010005 0001E505
	v_add_f32_e64 v6, v6, 1.0                                  // 000000008080: D1010006 0001E506
	v_add_f32_e64 v7, v7, 1.0                                  // 000000008088: D1010007 0001E507
	v_rcp_f32_e32 v4, v4                                       // 000000008090: 7E084504
	v_rcp_f32_e32 v5, v5                                       // 000000008094: 7E0A4505
	v_rcp_f32_e32 v6, v6                                       // 000000008098: 7E0C4506
	v_rcp_f32_e32 v7, v7                                       // 00000000809C: 7E0E4507
	v_mul_f32_e32 v72, v72, v4                                 // 0000000080A0: 0A900948
	v_mul_f32_e32 v73, v73, v5                                 // 0000000080A4: 0A920B49
	v_mul_f32_e32 v74, v74, v6                                 // 0000000080A8: 0A940D4A
	v_mul_f32_e32 v75, v75, v7                                 // 0000000080AC: 0A960F4B
	v_mul_f32_e32 v72, v72, v104                               // 0000000080B0: 0A90D148
	v_mul_f32_e32 v73, v73, v105                               // 0000000080B4: 0A92D349
	v_mul_f32_e32 v74, v74, v106                               // 0000000080B8: 0A94D54A
	v_mul_f32_e32 v75, v75, v107                               // 0000000080BC: 0A96D74B
	v_pk_mul_f32 v[4:5], v[76:77], v[76:77]                    // 0000000080C0: D3B14004 1802994C
	v_pk_mul_f32 v[6:7], v[78:79], v[78:79]                    // 0000000080C8: D3B14006 18029D4E
	v_pk_fma_f32 v[4:5], v[4:5], s[78:79], v[8:9]              // 0000000080D0: D3B04004 1C209D04
	v_pk_fma_f32 v[6:7], v[6:7], s[78:79], v[8:9]              // 0000000080D8: D3B04006 1C209D06
	v_pk_mul_f32 v[4:5], v[4:5], v[76:77]                      // 0000000080E0: D3B14004 18029904
	v_pk_mul_f32 v[6:7], v[6:7], v[78:79]                      // 0000000080E8: D3B14006 18029D06
	v_pk_mul_f32 v[4:5], v[4:5], s[60:61]                      // 0000000080F0: D3B14004 18007904
	v_pk_mul_f32 v[6:7], v[6:7], s[60:61]                      // 0000000080F8: D3B14006 18007906
	v_exp_f32_e32 v4, v4                                       // 000000008100: 7E084104
	v_exp_f32_e32 v5, v5                                       // 000000008104: 7E0A4105
	v_exp_f32_e32 v6, v6                                       // 000000008108: 7E0C4106
	v_exp_f32_e32 v7, v7                                       // 00000000810C: 7E0E4107
	v_add_f32_e64 v4, v4, 1.0                                  // 000000008110: D1010004 0001E504
	v_add_f32_e64 v5, v5, 1.0                                  // 000000008118: D1010005 0001E505
	v_add_f32_e64 v6, v6, 1.0                                  // 000000008120: D1010006 0001E506
	v_add_f32_e64 v7, v7, 1.0                                  // 000000008128: D1010007 0001E507
	v_rcp_f32_e32 v4, v4                                       // 000000008130: 7E084504
	v_rcp_f32_e32 v5, v5                                       // 000000008134: 7E0A4505
	v_rcp_f32_e32 v6, v6                                       // 000000008138: 7E0C4506
	v_rcp_f32_e32 v7, v7                                       // 00000000813C: 7E0E4507
	v_mul_f32_e32 v76, v76, v4                                 // 000000008140: 0A98094C
	v_mul_f32_e32 v77, v77, v5                                 // 000000008144: 0A9A0B4D
	v_mul_f32_e32 v78, v78, v6                                 // 000000008148: 0A9C0D4E
	v_mul_f32_e32 v79, v79, v7                                 // 00000000814C: 0A9E0F4F
	v_mul_f32_e32 v76, v76, v108                               // 000000008150: 0A98D94C
	v_mul_f32_e32 v77, v77, v109                               // 000000008154: 0A9ADB4D
	v_mul_f32_e32 v78, v78, v110                               // 000000008158: 0A9CDD4E
	v_mul_f32_e32 v79, v79, v111                               // 00000000815C: 0A9EDF4F
	s_branch label_16DC                                        // 000000008160: BF820100

0000000000008164 <label_15DC>:
	v_mul_f32_e64 v4, -v48, s6                                 // 000000008164: D1050004 20000D30
	v_mul_f32_e64 v5, -v49, s6                                 // 00000000816C: D1050005 20000D31
	v_mul_f32_e64 v6, -v50, s6                                 // 000000008174: D1050006 20000D32
	v_mul_f32_e64 v7, -v51, s6                                 // 00000000817C: D1050007 20000D33
	v_exp_f32_e32 v4, v4                                       // 000000008184: 7E084104
	v_exp_f32_e32 v5, v5                                       // 000000008188: 7E0A4105
	v_exp_f32_e32 v6, v6                                       // 00000000818C: 7E0C4106
	v_exp_f32_e32 v7, v7                                       // 000000008190: 7E0E4107
	v_add_f32_e64 v4, v4, 1.0                                  // 000000008194: D1010004 0001E504
	v_add_f32_e64 v5, v5, 1.0                                  // 00000000819C: D1010005 0001E505
	v_add_f32_e64 v6, v6, 1.0                                  // 0000000081A4: D1010006 0001E506
	v_add_f32_e64 v7, v7, 1.0                                  // 0000000081AC: D1010007 0001E507
	v_rcp_f32_e32 v4, v4                                       // 0000000081B4: 7E084504
	v_rcp_f32_e32 v5, v5                                       // 0000000081B8: 7E0A4505
	v_rcp_f32_e32 v6, v6                                       // 0000000081BC: 7E0C4506
	v_rcp_f32_e32 v7, v7                                       // 0000000081C0: 7E0E4507
	v_mul_f32_e32 v48, v48, v4                                 // 0000000081C4: 0A600930
	v_mul_f32_e32 v49, v49, v5                                 // 0000000081C8: 0A620B31
	v_mul_f32_e32 v50, v50, v6                                 // 0000000081CC: 0A640D32
	v_mul_f32_e32 v51, v51, v7                                 // 0000000081D0: 0A660F33
	v_mul_f32_e32 v48, v48, v80                                // 0000000081D4: 0A60A130
	v_mul_f32_e32 v49, v49, v81                                // 0000000081D8: 0A62A331
	v_mul_f32_e32 v50, v50, v82                                // 0000000081DC: 0A64A532
	v_mul_f32_e32 v51, v51, v83                                // 0000000081E0: 0A66A733
	v_mul_f32_e64 v4, -v52, s6                                 // 0000000081E4: D1050004 20000D34
	v_mul_f32_e64 v5, -v53, s6                                 // 0000000081EC: D1050005 20000D35
	v_mul_f32_e64 v6, -v54, s6                                 // 0000000081F4: D1050006 20000D36
	v_mul_f32_e64 v7, -v55, s6                                 // 0000000081FC: D1050007 20000D37
	v_exp_f32_e32 v4, v4                                       // 000000008204: 7E084104
	v_exp_f32_e32 v5, v5                                       // 000000008208: 7E0A4105
	v_exp_f32_e32 v6, v6                                       // 00000000820C: 7E0C4106
	v_exp_f32_e32 v7, v7                                       // 000000008210: 7E0E4107
	v_add_f32_e64 v4, v4, 1.0                                  // 000000008214: D1010004 0001E504
	v_add_f32_e64 v5, v5, 1.0                                  // 00000000821C: D1010005 0001E505
	v_add_f32_e64 v6, v6, 1.0                                  // 000000008224: D1010006 0001E506
	v_add_f32_e64 v7, v7, 1.0                                  // 00000000822C: D1010007 0001E507
	v_rcp_f32_e32 v4, v4                                       // 000000008234: 7E084504
	v_rcp_f32_e32 v5, v5                                       // 000000008238: 7E0A4505
	v_rcp_f32_e32 v6, v6                                       // 00000000823C: 7E0C4506
	v_rcp_f32_e32 v7, v7                                       // 000000008240: 7E0E4507
	v_mul_f32_e32 v52, v52, v4                                 // 000000008244: 0A680934
	v_mul_f32_e32 v53, v53, v5                                 // 000000008248: 0A6A0B35
	v_mul_f32_e32 v54, v54, v6                                 // 00000000824C: 0A6C0D36
	v_mul_f32_e32 v55, v55, v7                                 // 000000008250: 0A6E0F37
	v_mul_f32_e32 v52, v52, v84                                // 000000008254: 0A68A934
	v_mul_f32_e32 v53, v53, v85                                // 000000008258: 0A6AAB35
	v_mul_f32_e32 v54, v54, v86                                // 00000000825C: 0A6CAD36
	v_mul_f32_e32 v55, v55, v87                                // 000000008260: 0A6EAF37
	v_mul_f32_e64 v4, -v56, s6                                 // 000000008264: D1050004 20000D38
	v_mul_f32_e64 v5, -v57, s6                                 // 00000000826C: D1050005 20000D39
	v_mul_f32_e64 v6, -v58, s6                                 // 000000008274: D1050006 20000D3A
	v_mul_f32_e64 v7, -v59, s6                                 // 00000000827C: D1050007 20000D3B
	v_exp_f32_e32 v4, v4                                       // 000000008284: 7E084104
	v_exp_f32_e32 v5, v5                                       // 000000008288: 7E0A4105
	v_exp_f32_e32 v6, v6                                       // 00000000828C: 7E0C4106
	v_exp_f32_e32 v7, v7                                       // 000000008290: 7E0E4107
	v_add_f32_e64 v4, v4, 1.0                                  // 000000008294: D1010004 0001E504
	v_add_f32_e64 v5, v5, 1.0                                  // 00000000829C: D1010005 0001E505
	v_add_f32_e64 v6, v6, 1.0                                  // 0000000082A4: D1010006 0001E506
	v_add_f32_e64 v7, v7, 1.0                                  // 0000000082AC: D1010007 0001E507
	v_rcp_f32_e32 v4, v4                                       // 0000000082B4: 7E084504
	v_rcp_f32_e32 v5, v5                                       // 0000000082B8: 7E0A4505
	v_rcp_f32_e32 v6, v6                                       // 0000000082BC: 7E0C4506
	v_rcp_f32_e32 v7, v7                                       // 0000000082C0: 7E0E4507
	v_mul_f32_e32 v56, v56, v4                                 // 0000000082C4: 0A700938
	v_mul_f32_e32 v57, v57, v5                                 // 0000000082C8: 0A720B39
	v_mul_f32_e32 v58, v58, v6                                 // 0000000082CC: 0A740D3A
	v_mul_f32_e32 v59, v59, v7                                 // 0000000082D0: 0A760F3B
	v_mul_f32_e32 v56, v56, v88                                // 0000000082D4: 0A70B138
	v_mul_f32_e32 v57, v57, v89                                // 0000000082D8: 0A72B339
	v_mul_f32_e32 v58, v58, v90                                // 0000000082DC: 0A74B53A
	v_mul_f32_e32 v59, v59, v91                                // 0000000082E0: 0A76B73B
	v_mul_f32_e64 v4, -v60, s6                                 // 0000000082E4: D1050004 20000D3C
	v_mul_f32_e64 v5, -v61, s6                                 // 0000000082EC: D1050005 20000D3D
	v_mul_f32_e64 v6, -v62, s6                                 // 0000000082F4: D1050006 20000D3E
	v_mul_f32_e64 v7, -v63, s6                                 // 0000000082FC: D1050007 20000D3F
	v_exp_f32_e32 v4, v4                                       // 000000008304: 7E084104
	v_exp_f32_e32 v5, v5                                       // 000000008308: 7E0A4105
	v_exp_f32_e32 v6, v6                                       // 00000000830C: 7E0C4106
	v_exp_f32_e32 v7, v7                                       // 000000008310: 7E0E4107
	v_add_f32_e64 v4, v4, 1.0                                  // 000000008314: D1010004 0001E504
	v_add_f32_e64 v5, v5, 1.0                                  // 00000000831C: D1010005 0001E505
	v_add_f32_e64 v6, v6, 1.0                                  // 000000008324: D1010006 0001E506
	v_add_f32_e64 v7, v7, 1.0                                  // 00000000832C: D1010007 0001E507
	v_rcp_f32_e32 v4, v4                                       // 000000008334: 7E084504
	v_rcp_f32_e32 v5, v5                                       // 000000008338: 7E0A4505
	v_rcp_f32_e32 v6, v6                                       // 00000000833C: 7E0C4506
	v_rcp_f32_e32 v7, v7                                       // 000000008340: 7E0E4507
	v_mul_f32_e32 v60, v60, v4                                 // 000000008344: 0A78093C
	v_mul_f32_e32 v61, v61, v5                                 // 000000008348: 0A7A0B3D
	v_mul_f32_e32 v62, v62, v6                                 // 00000000834C: 0A7C0D3E
	v_mul_f32_e32 v63, v63, v7                                 // 000000008350: 0A7E0F3F
	v_mul_f32_e32 v60, v60, v92                                // 000000008354: 0A78B93C
	v_mul_f32_e32 v61, v61, v93                                // 000000008358: 0A7ABB3D
	v_mul_f32_e32 v62, v62, v94                                // 00000000835C: 0A7CBD3E
	v_mul_f32_e32 v63, v63, v95                                // 000000008360: 0A7EBF3F
	v_mul_f32_e64 v4, -v64, s6                                 // 000000008364: D1050004 20000D40
	v_mul_f32_e64 v5, -v65, s6                                 // 00000000836C: D1050005 20000D41
	v_mul_f32_e64 v6, -v66, s6                                 // 000000008374: D1050006 20000D42
	v_mul_f32_e64 v7, -v67, s6                                 // 00000000837C: D1050007 20000D43
	v_exp_f32_e32 v4, v4                                       // 000000008384: 7E084104
	v_exp_f32_e32 v5, v5                                       // 000000008388: 7E0A4105
	v_exp_f32_e32 v6, v6                                       // 00000000838C: 7E0C4106
	v_exp_f32_e32 v7, v7                                       // 000000008390: 7E0E4107
	v_add_f32_e64 v4, v4, 1.0                                  // 000000008394: D1010004 0001E504
	v_add_f32_e64 v5, v5, 1.0                                  // 00000000839C: D1010005 0001E505
	v_add_f32_e64 v6, v6, 1.0                                  // 0000000083A4: D1010006 0001E506
	v_add_f32_e64 v7, v7, 1.0                                  // 0000000083AC: D1010007 0001E507
	v_rcp_f32_e32 v4, v4                                       // 0000000083B4: 7E084504
	v_rcp_f32_e32 v5, v5                                       // 0000000083B8: 7E0A4505
	v_rcp_f32_e32 v6, v6                                       // 0000000083BC: 7E0C4506
	v_rcp_f32_e32 v7, v7                                       // 0000000083C0: 7E0E4507
	v_mul_f32_e32 v64, v64, v4                                 // 0000000083C4: 0A800940
	v_mul_f32_e32 v65, v65, v5                                 // 0000000083C8: 0A820B41
	v_mul_f32_e32 v66, v66, v6                                 // 0000000083CC: 0A840D42
	v_mul_f32_e32 v67, v67, v7                                 // 0000000083D0: 0A860F43
	v_mul_f32_e32 v64, v64, v96                                // 0000000083D4: 0A80C140
	v_mul_f32_e32 v65, v65, v97                                // 0000000083D8: 0A82C341
	v_mul_f32_e32 v66, v66, v98                                // 0000000083DC: 0A84C542
	v_mul_f32_e32 v67, v67, v99                                // 0000000083E0: 0A86C743
	v_mul_f32_e64 v4, -v68, s6                                 // 0000000083E4: D1050004 20000D44
	v_mul_f32_e64 v5, -v69, s6                                 // 0000000083EC: D1050005 20000D45
	v_mul_f32_e64 v6, -v70, s6                                 // 0000000083F4: D1050006 20000D46
	v_mul_f32_e64 v7, -v71, s6                                 // 0000000083FC: D1050007 20000D47
	v_exp_f32_e32 v4, v4                                       // 000000008404: 7E084104
	v_exp_f32_e32 v5, v5                                       // 000000008408: 7E0A4105
	v_exp_f32_e32 v6, v6                                       // 00000000840C: 7E0C4106
	v_exp_f32_e32 v7, v7                                       // 000000008410: 7E0E4107
	v_add_f32_e64 v4, v4, 1.0                                  // 000000008414: D1010004 0001E504
	v_add_f32_e64 v5, v5, 1.0                                  // 00000000841C: D1010005 0001E505
	v_add_f32_e64 v6, v6, 1.0                                  // 000000008424: D1010006 0001E506
	v_add_f32_e64 v7, v7, 1.0                                  // 00000000842C: D1010007 0001E507
	v_rcp_f32_e32 v4, v4                                       // 000000008434: 7E084504
	v_rcp_f32_e32 v5, v5                                       // 000000008438: 7E0A4505
	v_rcp_f32_e32 v6, v6                                       // 00000000843C: 7E0C4506
	v_rcp_f32_e32 v7, v7                                       // 000000008440: 7E0E4507
	v_mul_f32_e32 v68, v68, v4                                 // 000000008444: 0A880944
	v_mul_f32_e32 v69, v69, v5                                 // 000000008448: 0A8A0B45
	v_mul_f32_e32 v70, v70, v6                                 // 00000000844C: 0A8C0D46
	v_mul_f32_e32 v71, v71, v7                                 // 000000008450: 0A8E0F47
	v_mul_f32_e32 v68, v68, v100                               // 000000008454: 0A88C944
	v_mul_f32_e32 v69, v69, v101                               // 000000008458: 0A8ACB45
	v_mul_f32_e32 v70, v70, v102                               // 00000000845C: 0A8CCD46
	v_mul_f32_e32 v71, v71, v103                               // 000000008460: 0A8ECF47
	v_mul_f32_e64 v4, -v72, s6                                 // 000000008464: D1050004 20000D48
	v_mul_f32_e64 v5, -v73, s6                                 // 00000000846C: D1050005 20000D49
	v_mul_f32_e64 v6, -v74, s6                                 // 000000008474: D1050006 20000D4A
	v_mul_f32_e64 v7, -v75, s6                                 // 00000000847C: D1050007 20000D4B
	v_exp_f32_e32 v4, v4                                       // 000000008484: 7E084104
	v_exp_f32_e32 v5, v5                                       // 000000008488: 7E0A4105
	v_exp_f32_e32 v6, v6                                       // 00000000848C: 7E0C4106
	v_exp_f32_e32 v7, v7                                       // 000000008490: 7E0E4107
	v_add_f32_e64 v4, v4, 1.0                                  // 000000008494: D1010004 0001E504
	v_add_f32_e64 v5, v5, 1.0                                  // 00000000849C: D1010005 0001E505
	v_add_f32_e64 v6, v6, 1.0                                  // 0000000084A4: D1010006 0001E506
	v_add_f32_e64 v7, v7, 1.0                                  // 0000000084AC: D1010007 0001E507
	v_rcp_f32_e32 v4, v4                                       // 0000000084B4: 7E084504
	v_rcp_f32_e32 v5, v5                                       // 0000000084B8: 7E0A4505
	v_rcp_f32_e32 v6, v6                                       // 0000000084BC: 7E0C4506
	v_rcp_f32_e32 v7, v7                                       // 0000000084C0: 7E0E4507
	v_mul_f32_e32 v72, v72, v4                                 // 0000000084C4: 0A900948
	v_mul_f32_e32 v73, v73, v5                                 // 0000000084C8: 0A920B49
	v_mul_f32_e32 v74, v74, v6                                 // 0000000084CC: 0A940D4A
	v_mul_f32_e32 v75, v75, v7                                 // 0000000084D0: 0A960F4B
	v_mul_f32_e32 v72, v72, v104                               // 0000000084D4: 0A90D148
	v_mul_f32_e32 v73, v73, v105                               // 0000000084D8: 0A92D349
	v_mul_f32_e32 v74, v74, v106                               // 0000000084DC: 0A94D54A
	v_mul_f32_e32 v75, v75, v107                               // 0000000084E0: 0A96D74B
	v_mul_f32_e64 v4, -v76, s6                                 // 0000000084E4: D1050004 20000D4C
	v_mul_f32_e64 v5, -v77, s6                                 // 0000000084EC: D1050005 20000D4D
	v_mul_f32_e64 v6, -v78, s6                                 // 0000000084F4: D1050006 20000D4E
	v_mul_f32_e64 v7, -v79, s6                                 // 0000000084FC: D1050007 20000D4F
	v_exp_f32_e32 v4, v4                                       // 000000008504: 7E084104
	v_exp_f32_e32 v5, v5                                       // 000000008508: 7E0A4105
	v_exp_f32_e32 v6, v6                                       // 00000000850C: 7E0C4106
	v_exp_f32_e32 v7, v7                                       // 000000008510: 7E0E4107
	v_add_f32_e64 v4, v4, 1.0                                  // 000000008514: D1010004 0001E504
	v_add_f32_e64 v5, v5, 1.0                                  // 00000000851C: D1010005 0001E505
	v_add_f32_e64 v6, v6, 1.0                                  // 000000008524: D1010006 0001E506
	v_add_f32_e64 v7, v7, 1.0                                  // 00000000852C: D1010007 0001E507
	v_rcp_f32_e32 v4, v4                                       // 000000008534: 7E084504
	v_rcp_f32_e32 v5, v5                                       // 000000008538: 7E0A4505
	v_rcp_f32_e32 v6, v6                                       // 00000000853C: 7E0C4506
	v_rcp_f32_e32 v7, v7                                       // 000000008540: 7E0E4507
	v_mul_f32_e32 v76, v76, v4                                 // 000000008544: 0A98094C
	v_mul_f32_e32 v77, v77, v5                                 // 000000008548: 0A9A0B4D
	v_mul_f32_e32 v78, v78, v6                                 // 00000000854C: 0A9C0D4E
	v_mul_f32_e32 v79, v79, v7                                 // 000000008550: 0A9E0F4F
	v_mul_f32_e32 v76, v76, v108                               // 000000008554: 0A98D94C
	v_mul_f32_e32 v77, v77, v109                               // 000000008558: 0A9ADB4D
	v_mul_f32_e32 v78, v78, v110                               // 00000000855C: 0A9CDD4E
	v_mul_f32_e32 v79, v79, v111                               // 000000008560: 0A9EDF4F

0000000000008564 <label_16DC>:
	v_cmp_u_f32_e64 s[46:47], v48, v48                         // 000000008564: D048002E 00026130
	v_add3_u32 v16, v48, v19, 1                                // 00000000856C: D1FF0010 02062730
	v_cndmask_b32_e64 v4, v16, v18, s[46:47]                   // 000000008574: D1000004 00BA2510
	v_cmp_u_f32_e64 s[46:47], v49, v49                         // 00000000857C: D048002E 00026331
	v_add3_u32 v16, v49, v19, 1                                // 000000008584: D1FF0010 02062731
	v_cndmask_b32_e64 v5, v16, v18, s[46:47]                   // 00000000858C: D1000005 00BA2510
	v_perm_b32 v48, v5, v4, s52                                // 000000008594: D1ED0030 00D20905
	v_cmp_u_f32_e64 s[46:47], v50, v50                         // 00000000859C: D048002E 00026532
	v_add3_u32 v16, v50, v19, 1                                // 0000000085A4: D1FF0010 02062732
	v_cndmask_b32_e64 v4, v16, v18, s[46:47]                   // 0000000085AC: D1000004 00BA2510
	v_cmp_u_f32_e64 s[46:47], v51, v51                         // 0000000085B4: D048002E 00026733
	v_add3_u32 v16, v51, v19, 1                                // 0000000085BC: D1FF0010 02062733
	v_cndmask_b32_e64 v5, v16, v18, s[46:47]                   // 0000000085C4: D1000005 00BA2510
	v_perm_b32 v49, v5, v4, s52                                // 0000000085CC: D1ED0031 00D20905
	v_cmp_u_f32_e64 s[46:47], v52, v52                         // 0000000085D4: D048002E 00026934
	v_add3_u32 v16, v52, v19, 1                                // 0000000085DC: D1FF0010 02062734
	v_cndmask_b32_e64 v4, v16, v18, s[46:47]                   // 0000000085E4: D1000004 00BA2510
	v_cmp_u_f32_e64 s[46:47], v53, v53                         // 0000000085EC: D048002E 00026B35
	v_add3_u32 v16, v53, v19, 1                                // 0000000085F4: D1FF0010 02062735
	v_cndmask_b32_e64 v5, v16, v18, s[46:47]                   // 0000000085FC: D1000005 00BA2510
	v_perm_b32 v50, v5, v4, s52                                // 000000008604: D1ED0032 00D20905
	v_cmp_u_f32_e64 s[46:47], v54, v54                         // 00000000860C: D048002E 00026D36
	v_add3_u32 v16, v54, v19, 1                                // 000000008614: D1FF0010 02062736
	v_cndmask_b32_e64 v4, v16, v18, s[46:47]                   // 00000000861C: D1000004 00BA2510
	v_cmp_u_f32_e64 s[46:47], v55, v55                         // 000000008624: D048002E 00026F37
	v_add3_u32 v16, v55, v19, 1                                // 00000000862C: D1FF0010 02062737
	v_cndmask_b32_e64 v5, v16, v18, s[46:47]                   // 000000008634: D1000005 00BA2510
	v_perm_b32 v51, v5, v4, s52                                // 00000000863C: D1ED0033 00D20905
	v_cmp_u_f32_e64 s[46:47], v56, v56                         // 000000008644: D048002E 00027138
	v_add3_u32 v16, v56, v19, 1                                // 00000000864C: D1FF0010 02062738
	v_cndmask_b32_e64 v4, v16, v18, s[46:47]                   // 000000008654: D1000004 00BA2510
	v_cmp_u_f32_e64 s[46:47], v57, v57                         // 00000000865C: D048002E 00027339
	v_add3_u32 v16, v57, v19, 1                                // 000000008664: D1FF0010 02062739
	v_cndmask_b32_e64 v5, v16, v18, s[46:47]                   // 00000000866C: D1000005 00BA2510
	v_perm_b32 v52, v5, v4, s52                                // 000000008674: D1ED0034 00D20905
	v_cmp_u_f32_e64 s[46:47], v58, v58                         // 00000000867C: D048002E 0002753A
	v_add3_u32 v16, v58, v19, 1                                // 000000008684: D1FF0010 0206273A
	v_cndmask_b32_e64 v4, v16, v18, s[46:47]                   // 00000000868C: D1000004 00BA2510
	v_cmp_u_f32_e64 s[46:47], v59, v59                         // 000000008694: D048002E 0002773B
	v_add3_u32 v16, v59, v19, 1                                // 00000000869C: D1FF0010 0206273B
	v_cndmask_b32_e64 v5, v16, v18, s[46:47]                   // 0000000086A4: D1000005 00BA2510
	v_perm_b32 v53, v5, v4, s52                                // 0000000086AC: D1ED0035 00D20905
	v_cmp_u_f32_e64 s[46:47], v60, v60                         // 0000000086B4: D048002E 0002793C
	v_add3_u32 v16, v60, v19, 1                                // 0000000086BC: D1FF0010 0206273C
	v_cndmask_b32_e64 v4, v16, v18, s[46:47]                   // 0000000086C4: D1000004 00BA2510
	v_cmp_u_f32_e64 s[46:47], v61, v61                         // 0000000086CC: D048002E 00027B3D
	v_add3_u32 v16, v61, v19, 1                                // 0000000086D4: D1FF0010 0206273D
	v_cndmask_b32_e64 v5, v16, v18, s[46:47]                   // 0000000086DC: D1000005 00BA2510
	v_perm_b32 v54, v5, v4, s52                                // 0000000086E4: D1ED0036 00D20905
	v_cmp_u_f32_e64 s[46:47], v62, v62                         // 0000000086EC: D048002E 00027D3E
	v_add3_u32 v16, v62, v19, 1                                // 0000000086F4: D1FF0010 0206273E
	v_cndmask_b32_e64 v4, v16, v18, s[46:47]                   // 0000000086FC: D1000004 00BA2510
	v_cmp_u_f32_e64 s[46:47], v63, v63                         // 000000008704: D048002E 00027F3F
	v_add3_u32 v16, v63, v19, 1                                // 00000000870C: D1FF0010 0206273F
	v_cndmask_b32_e64 v5, v16, v18, s[46:47]                   // 000000008714: D1000005 00BA2510
	v_perm_b32 v55, v5, v4, s52                                // 00000000871C: D1ED0037 00D20905
	v_cmp_u_f32_e64 s[46:47], v64, v64                         // 000000008724: D048002E 00028140
	v_add3_u32 v16, v64, v19, 1                                // 00000000872C: D1FF0010 02062740
	v_cndmask_b32_e64 v4, v16, v18, s[46:47]                   // 000000008734: D1000004 00BA2510
	v_cmp_u_f32_e64 s[46:47], v65, v65                         // 00000000873C: D048002E 00028341
	v_add3_u32 v16, v65, v19, 1                                // 000000008744: D1FF0010 02062741
	v_cndmask_b32_e64 v5, v16, v18, s[46:47]                   // 00000000874C: D1000005 00BA2510
	v_perm_b32 v56, v5, v4, s52                                // 000000008754: D1ED0038 00D20905
	v_cmp_u_f32_e64 s[46:47], v66, v66                         // 00000000875C: D048002E 00028542
	v_add3_u32 v16, v66, v19, 1                                // 000000008764: D1FF0010 02062742
	v_cndmask_b32_e64 v4, v16, v18, s[46:47]                   // 00000000876C: D1000004 00BA2510
	v_cmp_u_f32_e64 s[46:47], v67, v67                         // 000000008774: D048002E 00028743
	v_add3_u32 v16, v67, v19, 1                                // 00000000877C: D1FF0010 02062743
	v_cndmask_b32_e64 v5, v16, v18, s[46:47]                   // 000000008784: D1000005 00BA2510
	v_perm_b32 v57, v5, v4, s52                                // 00000000878C: D1ED0039 00D20905
	v_cmp_u_f32_e64 s[46:47], v68, v68                         // 000000008794: D048002E 00028944
	v_add3_u32 v16, v68, v19, 1                                // 00000000879C: D1FF0010 02062744
	v_cndmask_b32_e64 v4, v16, v18, s[46:47]                   // 0000000087A4: D1000004 00BA2510
	v_cmp_u_f32_e64 s[46:47], v69, v69                         // 0000000087AC: D048002E 00028B45
	v_add3_u32 v16, v69, v19, 1                                // 0000000087B4: D1FF0010 02062745
	v_cndmask_b32_e64 v5, v16, v18, s[46:47]                   // 0000000087BC: D1000005 00BA2510
	v_perm_b32 v58, v5, v4, s52                                // 0000000087C4: D1ED003A 00D20905
	v_cmp_u_f32_e64 s[46:47], v70, v70                         // 0000000087CC: D048002E 00028D46
	v_add3_u32 v16, v70, v19, 1                                // 0000000087D4: D1FF0010 02062746
	v_cndmask_b32_e64 v4, v16, v18, s[46:47]                   // 0000000087DC: D1000004 00BA2510
	v_cmp_u_f32_e64 s[46:47], v71, v71                         // 0000000087E4: D048002E 00028F47
	v_add3_u32 v16, v71, v19, 1                                // 0000000087EC: D1FF0010 02062747
	v_cndmask_b32_e64 v5, v16, v18, s[46:47]                   // 0000000087F4: D1000005 00BA2510
	v_perm_b32 v59, v5, v4, s52                                // 0000000087FC: D1ED003B 00D20905
	v_cmp_u_f32_e64 s[46:47], v72, v72                         // 000000008804: D048002E 00029148
	v_add3_u32 v16, v72, v19, 1                                // 00000000880C: D1FF0010 02062748
	v_cndmask_b32_e64 v4, v16, v18, s[46:47]                   // 000000008814: D1000004 00BA2510
	v_cmp_u_f32_e64 s[46:47], v73, v73                         // 00000000881C: D048002E 00029349
	v_add3_u32 v16, v73, v19, 1                                // 000000008824: D1FF0010 02062749
	v_cndmask_b32_e64 v5, v16, v18, s[46:47]                   // 00000000882C: D1000005 00BA2510
	v_perm_b32 v60, v5, v4, s52                                // 000000008834: D1ED003C 00D20905
	v_cmp_u_f32_e64 s[46:47], v74, v74                         // 00000000883C: D048002E 0002954A
	v_add3_u32 v16, v74, v19, 1                                // 000000008844: D1FF0010 0206274A
	v_cndmask_b32_e64 v4, v16, v18, s[46:47]                   // 00000000884C: D1000004 00BA2510
	v_cmp_u_f32_e64 s[46:47], v75, v75                         // 000000008854: D048002E 0002974B
	v_add3_u32 v16, v75, v19, 1                                // 00000000885C: D1FF0010 0206274B
	v_cndmask_b32_e64 v5, v16, v18, s[46:47]                   // 000000008864: D1000005 00BA2510
	v_perm_b32 v61, v5, v4, s52                                // 00000000886C: D1ED003D 00D20905
	v_cmp_u_f32_e64 s[46:47], v76, v76                         // 000000008874: D048002E 0002994C
	v_add3_u32 v16, v76, v19, 1                                // 00000000887C: D1FF0010 0206274C
	v_cndmask_b32_e64 v4, v16, v18, s[46:47]                   // 000000008884: D1000004 00BA2510
	v_cmp_u_f32_e64 s[46:47], v77, v77                         // 00000000888C: D048002E 00029B4D
	v_add3_u32 v16, v77, v19, 1                                // 000000008894: D1FF0010 0206274D
	v_cndmask_b32_e64 v5, v16, v18, s[46:47]                   // 00000000889C: D1000005 00BA2510
	v_perm_b32 v62, v5, v4, s52                                // 0000000088A4: D1ED003E 00D20905
	v_cmp_u_f32_e64 s[46:47], v78, v78                         // 0000000088AC: D048002E 00029D4E
	v_add3_u32 v16, v78, v19, 1                                // 0000000088B4: D1FF0010 0206274E
	v_cndmask_b32_e64 v4, v16, v18, s[46:47]                   // 0000000088BC: D1000004 00BA2510
	v_cmp_u_f32_e64 s[46:47], v79, v79                         // 0000000088C4: D048002E 00029F4F
	v_add3_u32 v16, v79, v19, 1                                // 0000000088CC: D1FF0010 0206274F
	v_cndmask_b32_e64 v5, v16, v18, s[46:47]                   // 0000000088D4: D1000005 00BA2510
	v_perm_b32 v63, v5, v4, s52                                // 0000000088DC: D1ED003F 00D20905
	ds_write_b64 v20, v[48:49]                                 // 0000000088E4: D89A0000 00003014
	ds_write_b64 v20, v[50:51] offset:2176                     // 0000000088EC: D89A0880 00003214
	ds_write_b64 v20, v[52:53] offset:4352                     // 0000000088F4: D89A1100 00003414
	ds_write_b64 v20, v[54:55] offset:6528                     // 0000000088FC: D89A1980 00003614
	ds_write_b64 v20, v[56:57] offset:8704                     // 000000008904: D89A2200 00003814
	ds_write_b64 v20, v[58:59] offset:10880                    // 00000000890C: D89A2A80 00003A14
	ds_write_b64 v20, v[60:61] offset:13056                    // 000000008914: D89A3300 00003C14
	ds_write_b64 v20, v[62:63] offset:15232                    // 00000000891C: D89A3B80 00003E14
	v_lshrrev_b32_e32 v4, 5, v0                                // 000000008924: 20080085
	v_xor_b32_e32 v5, 1, v4                                    // 000000008928: 2A0A0881
	s_mul_i32 s60, s65, 2                                      // 00000000892C: 923C8241
	s_cmp_eq_u32 s88, 0                                        // 000000008930: BF068058
	s_cselect_b32 s61, 1, 4                                    // 000000008934: 853D8481
	s_mul_i32 s60, s61, s60                                    // 000000008938: 923C3C3D
	v_readlane_b32 s82, v3, 0                                  // 00000000893C: D2890052 00010103
	s_lshr_b32 s61, s82, 24                                    // 000000008944: 8F3D9852
	s_and_b32 s82, s82, 0xffffff                               // 000000008948: 8652FF52 00FFFFFF
	s_mul_i32 s82, s82, s71                                    // 000000008950: 92524752
	s_mul_i32 s61, s60, s61                                    // 000000008954: 923D3D3C
	s_add_u32 s82, s82, s61                                    // 000000008958: 80523D52
	v_mul_lo_u32 v6, v5, s82                                   // 00000000895C: D2850006 0000A505
	v_readlane_b32 s82, v3, 1                                  // 000000008964: D2890052 00010303
	s_lshr_b32 s61, s82, 24                                    // 00000000896C: 8F3D9852
	s_and_b32 s82, s82, 0xffffff                               // 000000008970: 8652FF52 00FFFFFF
	s_mul_i32 s82, s82, s71                                    // 000000008978: 92524752
	s_mul_i32 s61, s60, s61                                    // 00000000897C: 923D3D3C
	s_add_u32 s82, s82, s61                                    // 000000008980: 80523D52
	v_mul_lo_u32 v7, v4, s82                                   // 000000008984: D2850007 0000A504
	v_add_u32_e32 v35, v6, v7                                  // 00000000898C: 68460F06
	v_readlane_b32 s82, v3, 2                                  // 000000008990: D2890052 00010503
	s_lshr_b32 s61, s82, 24                                    // 000000008998: 8F3D9852
	s_and_b32 s82, s82, 0xffffff                               // 00000000899C: 8652FF52 00FFFFFF
	s_mul_i32 s82, s82, s71                                    // 0000000089A4: 92524752
	s_mul_i32 s61, s60, s61                                    // 0000000089A8: 923D3D3C
	s_add_u32 s82, s82, s61                                    // 0000000089AC: 80523D52
	v_mul_lo_u32 v6, v5, s82                                   // 0000000089B0: D2850006 0000A505
	v_readlane_b32 s82, v3, 3                                  // 0000000089B8: D2890052 00010703
	s_lshr_b32 s61, s82, 24                                    // 0000000089C0: 8F3D9852
	s_and_b32 s82, s82, 0xffffff                               // 0000000089C4: 8652FF52 00FFFFFF
	s_mul_i32 s82, s82, s71                                    // 0000000089CC: 92524752
	s_mul_i32 s61, s60, s61                                    // 0000000089D0: 923D3D3C
	s_add_u32 s82, s82, s61                                    // 0000000089D4: 80523D52
	v_mul_lo_u32 v7, v4, s82                                   // 0000000089D8: D2850007 0000A504
	v_add_u32_e32 v36, v6, v7                                  // 0000000089E0: 68480F06
	v_and_b32_e32 v4, 31, v0                                   // 0000000089E4: 2608009F
	v_lshrrev_b32_e32 v4, 1, v4                                // 0000000089E8: 20080881
	s_cmp_eq_u32 s88, 0                                        // 0000000089EC: BF068058
	s_cselect_b32 s61, 2, 4                                    // 0000000089F0: 853D8482
	v_mul_lo_u32 v4, v4, s61                                   // 0000000089F4: D2850004 00007B04
	v_and_b32_e64 v5, v0, 1                                    // 0000000089FC: D1130005 00010300
	v_add_u32_e32 v4, v4, v5                                   // 000000008A04: 68080B04
	v_lshlrev_b32_e32 v4, 2, v4                                // 000000008A08: 24080882
	v_add_u32_e32 v35, v35, v4                                 // 000000008A0C: 68460923
	v_add_u32_e32 v36, v36, v4                                 // 000000008A10: 68480924
	s_waitcnt lgkmcnt(0)                                       // 000000008A14: BF8CC07F
	s_barrier                                                  // 000000008A18: BF8A0000
	ds_read_b32 v48, v21                                       // 000000008A1C: D86C0000 30000015
	ds_read_b32 v49, v21 offset:64                             // 000000008A24: D86C0040 31000015
	ds_read_b32 v50, v21 offset:2176                           // 000000008A2C: D86C0880 32000015
	ds_read_b32 v51, v21 offset:2240                           // 000000008A34: D86C08C0 33000015
	ds_read_b32 v52, v21 offset:4352                           // 000000008A3C: D86C1100 34000015
	ds_read_b32 v53, v21 offset:4416                           // 000000008A44: D86C1140 35000015
	ds_read_b32 v54, v21 offset:6528                           // 000000008A4C: D86C1980 36000015
	ds_read_b32 v55, v21 offset:6592                           // 000000008A54: D86C19C0 37000015
	ds_read_b32 v56, v21 offset:8704                           // 000000008A5C: D86C2200 38000015
	ds_read_b32 v57, v21 offset:8768                           // 000000008A64: D86C2240 39000015
	ds_read_b32 v58, v21 offset:10880                          // 000000008A6C: D86C2A80 3A000015
	ds_read_b32 v59, v21 offset:10944                          // 000000008A74: D86C2AC0 3B000015
	ds_read_b32 v60, v21 offset:13056                          // 000000008A7C: D86C3300 3C000015
	ds_read_b32 v61, v21 offset:13120                          // 000000008A84: D86C3340 3D000015
	ds_read_b32 v62, v21 offset:15232                          // 000000008A8C: D86C3B80 3E000015
	ds_read_b32 v63, v21 offset:15296                          // 000000008A94: D86C3BC0 3F000015
	s_waitcnt lgkmcnt(0)                                       // 000000008A9C: BF8CC07F
	s_mov_b32 s36, -1                                          // 000000008AA0: BEA400C1
	s_mov_b32 s37, -1                                          // 000000008AA4: BEA500C1
	v_mov_b32_e32 v7, 0                                        // 000000008AA8: 7E0E0280
	s_or_b32 s9, s9, 0x40000                                   // 000000008AAC: 8709FF09 00040000
	s_mov_b64 exec, s[36:37]                                   // 000000008AB4: BEFE0124
	v_mov_b32_e32 v6, v35                                      // 000000008AB8: 7E0C0323
	s_mov_b64 s[60:61], 0                                      // 000000008ABC: BEBC0180
	v_readlane_b32 s82, v3, 0                                  // 000000008AC0: D2890052 00010103
	s_and_b32 s82, s82, 0xffffff                               // 000000008AC8: 8652FF52 00FFFFFF
	s_cmp_lt_u32 s82, s66                                      // 000000008AD0: BF0A4252
	s_cselect_b32 s20, s36, s60                                // 000000008AD4: 85143C24
	v_readlane_b32 s82, v3, 1                                  // 000000008AD8: D2890052 00010303
	s_and_b32 s82, s82, 0xffffff                               // 000000008AE0: 8652FF52 00FFFFFF
	s_cmp_lt_u32 s82, s66                                      // 000000008AE8: BF0A4252
	s_cselect_b32 s21, s36, s60                                // 000000008AEC: 85153C24
	s_mov_b64 exec, s[20:21]                                   // 000000008AF0: BEFE0114
	buffer_store_dword v48, v6, s[8:11], 0 offen               // 000000008AF4: E0701000 80023006
	buffer_store_dword v50, v6, s[8:11], 0 offen offset:128    // 000000008AFC: E0701080 80023206
	buffer_store_dword v52, v6, s[8:11], 0 offen offset:256    // 000000008B04: E0701100 80023406
	buffer_store_dword v54, v6, s[8:11], 0 offen offset:384    // 000000008B0C: E0701180 80023606
	buffer_store_dword v56, v6, s[8:11], 0 offen offset:512    // 000000008B14: E0701200 80023806
	buffer_store_dword v58, v6, s[8:11], 0 offen offset:640    // 000000008B1C: E0701280 80023A06
	buffer_store_dword v60, v6, s[8:11], 0 offen offset:768    // 000000008B24: E0701300 80023C06
	buffer_store_dword v62, v6, s[8:11], 0 offen offset:896    // 000000008B2C: E0701380 80023E06
	s_mov_b64 exec, s[36:37]                                   // 000000008B34: BEFE0124
	v_mov_b32_e32 v6, v36                                      // 000000008B38: 7E0C0324
	s_mov_b64 s[60:61], 0                                      // 000000008B3C: BEBC0180
	v_readlane_b32 s82, v3, 2                                  // 000000008B40: D2890052 00010503
	s_and_b32 s82, s82, 0xffffff                               // 000000008B48: 8652FF52 00FFFFFF
	s_cmp_lt_u32 s82, s66                                      // 000000008B50: BF0A4252
	s_cselect_b32 s20, s36, s60                                // 000000008B54: 85143C24
	v_readlane_b32 s82, v3, 3                                  // 000000008B58: D2890052 00010703
	s_and_b32 s82, s82, 0xffffff                               // 000000008B60: 8652FF52 00FFFFFF
	s_cmp_lt_u32 s82, s66                                      // 000000008B68: BF0A4252
	s_cselect_b32 s21, s36, s60                                // 000000008B6C: 85153C24
	s_mov_b64 exec, s[20:21]                                   // 000000008B70: BEFE0114
	buffer_store_dword v49, v6, s[8:11], 0 offen               // 000000008B74: E0701000 80023106
	buffer_store_dword v51, v6, s[8:11], 0 offen offset:128    // 000000008B7C: E0701080 80023306
	buffer_store_dword v53, v6, s[8:11], 0 offen offset:256    // 000000008B84: E0701100 80023506
	buffer_store_dword v55, v6, s[8:11], 0 offen offset:384    // 000000008B8C: E0701180 80023706
	buffer_store_dword v57, v6, s[8:11], 0 offen offset:512    // 000000008B94: E0701200 80023906
	buffer_store_dword v59, v6, s[8:11], 0 offen offset:640    // 000000008B9C: E0701280 80023B06
	buffer_store_dword v61, v6, s[8:11], 0 offen offset:768    // 000000008BA4: E0701300 80023D06
	buffer_store_dword v63, v6, s[8:11], 0 offen offset:896    // 000000008BAC: E0701380 80023F06
	s_mov_b64 exec, s[36:37]                                   // 000000008BB4: BEFE0124
	s_branch label_1A88                                        // 000000008BB8: BF820216

0000000000008bbc <label_1872>:
	ds_write_b64 v20, v[48:49]                                 // 000000008BBC: D89A0000 00003014
	ds_write_b64 v20, v[52:53] offset:2176                     // 000000008BC4: D89A0880 00003414
	ds_write_b64 v20, v[56:57] offset:4352                     // 000000008BCC: D89A1100 00003814
	ds_write_b64 v20, v[60:61] offset:6528                     // 000000008BD4: D89A1980 00003C14
	ds_write_b64 v20, v[64:65] offset:8704                     // 000000008BDC: D89A2200 00004014
	ds_write_b64 v20, v[68:69] offset:10880                    // 000000008BE4: D89A2A80 00004414
	ds_write_b64 v20, v[72:73] offset:13056                    // 000000008BEC: D89A3300 00004814
	ds_write_b64 v20, v[76:77] offset:15232                    // 000000008BF4: D89A3B80 00004C14
	v_lshrrev_b32_e32 v4, 5, v0                                // 000000008BFC: 20080085
	v_xor_b32_e32 v5, 1, v4                                    // 000000008C00: 2A0A0881
	s_mul_i32 s60, s65, 2                                      // 000000008C04: 923C8241
	s_cmp_eq_u32 s88, 0                                        // 000000008C08: BF068058
	s_cselect_b32 s61, 1, 4                                    // 000000008C0C: 853D8481
	s_mul_i32 s60, s61, s60                                    // 000000008C10: 923C3C3D
	v_readlane_b32 s82, v3, 0                                  // 000000008C14: D2890052 00010103
	s_lshr_b32 s61, s82, 24                                    // 000000008C1C: 8F3D9852
	s_and_b32 s82, s82, 0xffffff                               // 000000008C20: 8652FF52 00FFFFFF
	s_mul_i32 s82, s82, s71                                    // 000000008C28: 92524752
	s_mul_i32 s61, s60, s61                                    // 000000008C2C: 923D3D3C
	s_add_u32 s82, s82, s61                                    // 000000008C30: 80523D52
	v_mul_lo_u32 v6, v5, s82                                   // 000000008C34: D2850006 0000A505
	v_readlane_b32 s82, v3, 1                                  // 000000008C3C: D2890052 00010303
	s_lshr_b32 s61, s82, 24                                    // 000000008C44: 8F3D9852
	s_and_b32 s82, s82, 0xffffff                               // 000000008C48: 8652FF52 00FFFFFF
	s_mul_i32 s82, s82, s71                                    // 000000008C50: 92524752
	s_mul_i32 s61, s60, s61                                    // 000000008C54: 923D3D3C
	s_add_u32 s82, s82, s61                                    // 000000008C58: 80523D52
	v_mul_lo_u32 v7, v4, s82                                   // 000000008C5C: D2850007 0000A504
	v_add_u32_e32 v35, v6, v7                                  // 000000008C64: 68460F06
	v_readlane_b32 s82, v3, 2                                  // 000000008C68: D2890052 00010503
	s_lshr_b32 s61, s82, 24                                    // 000000008C70: 8F3D9852
	s_and_b32 s82, s82, 0xffffff                               // 000000008C74: 8652FF52 00FFFFFF
	s_mul_i32 s82, s82, s71                                    // 000000008C7C: 92524752
	s_mul_i32 s61, s60, s61                                    // 000000008C80: 923D3D3C
	s_add_u32 s82, s82, s61                                    // 000000008C84: 80523D52
	v_mul_lo_u32 v6, v5, s82                                   // 000000008C88: D2850006 0000A505
	v_readlane_b32 s82, v3, 3                                  // 000000008C90: D2890052 00010703
	s_lshr_b32 s61, s82, 24                                    // 000000008C98: 8F3D9852
	s_and_b32 s82, s82, 0xffffff                               // 000000008C9C: 8652FF52 00FFFFFF
	s_mul_i32 s82, s82, s71                                    // 000000008CA4: 92524752
	s_mul_i32 s61, s60, s61                                    // 000000008CA8: 923D3D3C
	s_add_u32 s82, s82, s61                                    // 000000008CAC: 80523D52
	v_mul_lo_u32 v7, v4, s82                                   // 000000008CB0: D2850007 0000A504
	v_add_u32_e32 v36, v6, v7                                  // 000000008CB8: 68480F06
	v_and_b32_e32 v4, 31, v0                                   // 000000008CBC: 2608009F
	v_lshrrev_b32_e32 v4, 1, v4                                // 000000008CC0: 20080881
	s_cmp_eq_u32 s88, 0                                        // 000000008CC4: BF068058
	s_cselect_b32 s61, 2, 4                                    // 000000008CC8: 853D8482
	v_mul_lo_u32 v4, v4, s61                                   // 000000008CCC: D2850004 00007B04
	v_and_b32_e64 v5, v0, 1                                    // 000000008CD4: D1130005 00010300
	v_add_u32_e32 v4, v4, v5                                   // 000000008CDC: 68080B04
	v_lshlrev_b32_e32 v4, 2, v4                                // 000000008CE0: 24080882
	v_add_u32_e32 v35, v35, v4                                 // 000000008CE4: 68460923
	v_add_u32_e32 v36, v36, v4                                 // 000000008CE8: 68480924
	s_waitcnt lgkmcnt(0)                                       // 000000008CEC: BF8CC07F
	s_barrier                                                  // 000000008CF0: BF8A0000
	ds_read_b32 v48, v21                                       // 000000008CF4: D86C0000 30000015
	ds_read_b32 v49, v21 offset:64                             // 000000008CFC: D86C0040 31000015
	ds_read_b32 v52, v21 offset:2176                           // 000000008D04: D86C0880 34000015
	ds_read_b32 v53, v21 offset:2240                           // 000000008D0C: D86C08C0 35000015
	ds_read_b32 v56, v21 offset:4352                           // 000000008D14: D86C1100 38000015
	ds_read_b32 v57, v21 offset:4416                           // 000000008D1C: D86C1140 39000015
	ds_read_b32 v60, v21 offset:6528                           // 000000008D24: D86C1980 3C000015
	ds_read_b32 v61, v21 offset:6592                           // 000000008D2C: D86C19C0 3D000015
	ds_read_b32 v64, v21 offset:8704                           // 000000008D34: D86C2200 40000015
	ds_read_b32 v65, v21 offset:8768                           // 000000008D3C: D86C2240 41000015
	ds_read_b32 v68, v21 offset:10880                          // 000000008D44: D86C2A80 44000015
	ds_read_b32 v69, v21 offset:10944                          // 000000008D4C: D86C2AC0 45000015
	ds_read_b32 v72, v21 offset:13056                          // 000000008D54: D86C3300 48000015
	ds_read_b32 v73, v21 offset:13120                          // 000000008D5C: D86C3340 49000015
	ds_read_b32 v76, v21 offset:15232                          // 000000008D64: D86C3B80 4C000015
	ds_read_b32 v77, v21 offset:15296                          // 000000008D6C: D86C3BC0 4D000015
	s_waitcnt lgkmcnt(0)                                       // 000000008D74: BF8CC07F
	s_mov_b32 s36, -1                                          // 000000008D78: BEA400C1
	s_mov_b32 s37, -1                                          // 000000008D7C: BEA500C1
	v_mov_b32_e32 v7, 0                                        // 000000008D80: 7E0E0280
	s_mov_b64 exec, s[36:37]                                   // 000000008D84: BEFE0124
	v_mov_b32_e32 v6, v35                                      // 000000008D88: 7E0C0323
	s_mov_b64 s[60:61], 0                                      // 000000008D8C: BEBC0180
	v_readlane_b32 s82, v3, 0                                  // 000000008D90: D2890052 00010103
	s_and_b32 s82, s82, 0xffffff                               // 000000008D98: 8652FF52 00FFFFFF
	s_cmp_lt_u32 s82, s66                                      // 000000008DA0: BF0A4252
	s_cselect_b32 s20, s36, s60                                // 000000008DA4: 85143C24
	v_readlane_b32 s82, v3, 1                                  // 000000008DA8: D2890052 00010303
	s_and_b32 s82, s82, 0xffffff                               // 000000008DB0: 8652FF52 00FFFFFF
	s_cmp_lt_u32 s82, s66                                      // 000000008DB8: BF0A4252
	s_cselect_b32 s21, s36, s60                                // 000000008DBC: 85153C24
	s_mov_b64 exec, s[20:21]                                   // 000000008DC0: BEFE0114
	global_atomic_add_f32 v6, v48, s[8:9]                      // 000000008DC4: DD348000 00083006
	global_atomic_add_f32 v6, v52, s[8:9] offset:256           // 000000008DCC: DD348100 00083406
	global_atomic_add_f32 v6, v56, s[8:9] offset:512           // 000000008DD4: DD348200 00083806
	global_atomic_add_f32 v6, v60, s[8:9] offset:768           // 000000008DDC: DD348300 00083C06
	global_atomic_add_f32 v6, v64, s[8:9] offset:1024          // 000000008DE4: DD348400 00084006
	global_atomic_add_f32 v6, v68, s[8:9] offset:1280          // 000000008DEC: DD348500 00084406
	global_atomic_add_f32 v6, v72, s[8:9] offset:1536          // 000000008DF4: DD348600 00084806
	global_atomic_add_f32 v6, v76, s[8:9] offset:1792          // 000000008DFC: DD348700 00084C06
	s_mov_b64 exec, s[36:37]                                   // 000000008E04: BEFE0124
	v_mov_b32_e32 v6, v36                                      // 000000008E08: 7E0C0324
	s_mov_b64 s[60:61], 0                                      // 000000008E0C: BEBC0180
	v_readlane_b32 s82, v3, 2                                  // 000000008E10: D2890052 00010503
	s_and_b32 s82, s82, 0xffffff                               // 000000008E18: 8652FF52 00FFFFFF
	s_cmp_lt_u32 s82, s66                                      // 000000008E20: BF0A4252
	s_cselect_b32 s20, s36, s60                                // 000000008E24: 85143C24
	v_readlane_b32 s82, v3, 3                                  // 000000008E28: D2890052 00010703
	s_and_b32 s82, s82, 0xffffff                               // 000000008E30: 8652FF52 00FFFFFF
	s_cmp_lt_u32 s82, s66                                      // 000000008E38: BF0A4252
	s_cselect_b32 s21, s36, s60                                // 000000008E3C: 85153C24
	s_mov_b64 exec, s[20:21]                                   // 000000008E40: BEFE0114
	global_atomic_add_f32 v6, v49, s[8:9]                      // 000000008E44: DD348000 00083106
	global_atomic_add_f32 v6, v53, s[8:9] offset:256           // 000000008E4C: DD348100 00083506
	global_atomic_add_f32 v6, v57, s[8:9] offset:512           // 000000008E54: DD348200 00083906
	global_atomic_add_f32 v6, v61, s[8:9] offset:768           // 000000008E5C: DD348300 00083D06
	global_atomic_add_f32 v6, v65, s[8:9] offset:1024          // 000000008E64: DD348400 00084106
	global_atomic_add_f32 v6, v69, s[8:9] offset:1280          // 000000008E6C: DD348500 00084506
	global_atomic_add_f32 v6, v73, s[8:9] offset:1536          // 000000008E74: DD348600 00084906
	global_atomic_add_f32 v6, v77, s[8:9] offset:1792          // 000000008E7C: DD348700 00084D06
	s_mov_b64 exec, s[36:37]                                   // 000000008E84: BEFE0124
	ds_write_b64 v20, v[50:51]                                 // 000000008E88: D89A0000 00003214
	ds_write_b64 v20, v[54:55] offset:2176                     // 000000008E90: D89A0880 00003614
	ds_write_b64 v20, v[58:59] offset:4352                     // 000000008E98: D89A1100 00003A14
	ds_write_b64 v20, v[62:63] offset:6528                     // 000000008EA0: D89A1980 00003E14
	ds_write_b64 v20, v[66:67] offset:8704                     // 000000008EA8: D89A2200 00004214
	ds_write_b64 v20, v[70:71] offset:10880                    // 000000008EB0: D89A2A80 00004614
	ds_write_b64 v20, v[74:75] offset:13056                    // 000000008EB8: D89A3300 00004A14
	ds_write_b64 v20, v[78:79] offset:15232                    // 000000008EC0: D89A3B80 00004E14
	s_waitcnt lgkmcnt(0)                                       // 000000008EC8: BF8CC07F
	s_barrier                                                  // 000000008ECC: BF8A0000
	ds_read_b32 v50, v21                                       // 000000008ED0: D86C0000 32000015
	ds_read_b32 v51, v21 offset:64                             // 000000008ED8: D86C0040 33000015
	ds_read_b32 v54, v21 offset:2176                           // 000000008EE0: D86C0880 36000015
	ds_read_b32 v55, v21 offset:2240                           // 000000008EE8: D86C08C0 37000015
	ds_read_b32 v58, v21 offset:4352                           // 000000008EF0: D86C1100 3A000015
	ds_read_b32 v59, v21 offset:4416                           // 000000008EF8: D86C1140 3B000015
	ds_read_b32 v62, v21 offset:6528                           // 000000008F00: D86C1980 3E000015
	ds_read_b32 v63, v21 offset:6592                           // 000000008F08: D86C19C0 3F000015
	ds_read_b32 v66, v21 offset:8704                           // 000000008F10: D86C2200 42000015
	ds_read_b32 v67, v21 offset:8768                           // 000000008F18: D86C2240 43000015
	ds_read_b32 v70, v21 offset:10880                          // 000000008F20: D86C2A80 46000015
	ds_read_b32 v71, v21 offset:10944                          // 000000008F28: D86C2AC0 47000015
	ds_read_b32 v74, v21 offset:13056                          // 000000008F30: D86C3300 4A000015
	ds_read_b32 v75, v21 offset:13120                          // 000000008F38: D86C3340 4B000015
	ds_read_b32 v78, v21 offset:15232                          // 000000008F40: D86C3B80 4E000015
	ds_read_b32 v79, v21 offset:15296                          // 000000008F48: D86C3BC0 4F000015
	s_waitcnt lgkmcnt(0)                                       // 000000008F50: BF8CC07F
	v_mov_b32_e32 v7, 0                                        // 000000008F54: 7E0E0280
	s_mov_b64 exec, s[36:37]                                   // 000000008F58: BEFE0124
	v_mov_b32_e32 v6, v35                                      // 000000008F5C: 7E0C0323
	s_mov_b64 s[60:61], 0                                      // 000000008F60: BEBC0180
	v_readlane_b32 s82, v3, 0                                  // 000000008F64: D2890052 00010103
	s_and_b32 s82, s82, 0xffffff                               // 000000008F6C: 8652FF52 00FFFFFF
	s_cmp_lt_u32 s82, s66                                      // 000000008F74: BF0A4252
	s_cselect_b32 s20, s36, s60                                // 000000008F78: 85143C24
	v_readlane_b32 s82, v3, 1                                  // 000000008F7C: D2890052 00010303
	s_and_b32 s82, s82, 0xffffff                               // 000000008F84: 8652FF52 00FFFFFF
	s_cmp_lt_u32 s82, s66                                      // 000000008F8C: BF0A4252
	s_cselect_b32 s21, s36, s60                                // 000000008F90: 85153C24
	s_mov_b64 exec, s[20:21]                                   // 000000008F94: BEFE0114
	global_atomic_add_f32 v6, v50, s[8:9] offset:8             // 000000008F98: DD348008 00083206
	global_atomic_add_f32 v6, v54, s[8:9] offset:264           // 000000008FA0: DD348108 00083606
	global_atomic_add_f32 v6, v58, s[8:9] offset:520           // 000000008FA8: DD348208 00083A06
	global_atomic_add_f32 v6, v62, s[8:9] offset:776           // 000000008FB0: DD348308 00083E06
	global_atomic_add_f32 v6, v66, s[8:9] offset:1032          // 000000008FB8: DD348408 00084206
	global_atomic_add_f32 v6, v70, s[8:9] offset:1288          // 000000008FC0: DD348508 00084606
	global_atomic_add_f32 v6, v74, s[8:9] offset:1544          // 000000008FC8: DD348608 00084A06
	global_atomic_add_f32 v6, v78, s[8:9] offset:1800          // 000000008FD0: DD348708 00084E06
	s_mov_b64 exec, s[36:37]                                   // 000000008FD8: BEFE0124
	v_mov_b32_e32 v6, v36                                      // 000000008FDC: 7E0C0324
	s_mov_b64 s[60:61], 0                                      // 000000008FE0: BEBC0180
	v_readlane_b32 s82, v3, 2                                  // 000000008FE4: D2890052 00010503
	s_and_b32 s82, s82, 0xffffff                               // 000000008FEC: 8652FF52 00FFFFFF
	s_cmp_lt_u32 s82, s66                                      // 000000008FF4: BF0A4252
	s_cselect_b32 s20, s36, s60                                // 000000008FF8: 85143C24
	v_readlane_b32 s82, v3, 3                                  // 000000008FFC: D2890052 00010703
	s_and_b32 s82, s82, 0xffffff                               // 000000009004: 8652FF52 00FFFFFF
	s_cmp_lt_u32 s82, s66                                      // 00000000900C: BF0A4252
	s_cselect_b32 s21, s36, s60                                // 000000009010: 85153C24
	s_mov_b64 exec, s[20:21]                                   // 000000009014: BEFE0114
	global_atomic_add_f32 v6, v51, s[8:9] offset:8             // 000000009018: DD348008 00083306
	global_atomic_add_f32 v6, v55, s[8:9] offset:264           // 000000009020: DD348108 00083706
	global_atomic_add_f32 v6, v59, s[8:9] offset:520           // 000000009028: DD348208 00083B06
	global_atomic_add_f32 v6, v63, s[8:9] offset:776           // 000000009030: DD348308 00083F06
	global_atomic_add_f32 v6, v67, s[8:9] offset:1032          // 000000009038: DD348408 00084306
	global_atomic_add_f32 v6, v71, s[8:9] offset:1288          // 000000009040: DD348508 00084706
	global_atomic_add_f32 v6, v75, s[8:9] offset:1544          // 000000009048: DD348608 00084B06
	global_atomic_add_f32 v6, v79, s[8:9] offset:1800          // 000000009050: DD348708 00084F06
	s_mov_b64 exec, s[36:37]                                   // 000000009058: BEFE0124
	ds_write_b64 v20, v[80:81]                                 // 00000000905C: D89A0000 00005014
	ds_write_b64 v20, v[84:85] offset:2176                     // 000000009064: D89A0880 00005414
	ds_write_b64 v20, v[88:89] offset:4352                     // 00000000906C: D89A1100 00005814
	ds_write_b64 v20, v[92:93] offset:6528                     // 000000009074: D89A1980 00005C14
	ds_write_b64 v20, v[96:97] offset:8704                     // 00000000907C: D89A2200 00006014
	ds_write_b64 v20, v[100:101] offset:10880                  // 000000009084: D89A2A80 00006414
	ds_write_b64 v20, v[104:105] offset:13056                  // 00000000908C: D89A3300 00006814
	ds_write_b64 v20, v[108:109] offset:15232                  // 000000009094: D89A3B80 00006C14
	s_waitcnt lgkmcnt(0)                                       // 00000000909C: BF8CC07F
	s_barrier                                                  // 0000000090A0: BF8A0000
	ds_read_b32 v80, v21                                       // 0000000090A4: D86C0000 50000015
	ds_read_b32 v81, v21 offset:64                             // 0000000090AC: D86C0040 51000015
	ds_read_b32 v84, v21 offset:2176                           // 0000000090B4: D86C0880 54000015
	ds_read_b32 v85, v21 offset:2240                           // 0000000090BC: D86C08C0 55000015
	ds_read_b32 v88, v21 offset:4352                           // 0000000090C4: D86C1100 58000015
	ds_read_b32 v89, v21 offset:4416                           // 0000000090CC: D86C1140 59000015
	ds_read_b32 v92, v21 offset:6528                           // 0000000090D4: D86C1980 5C000015
	ds_read_b32 v93, v21 offset:6592                           // 0000000090DC: D86C19C0 5D000015
	ds_read_b32 v96, v21 offset:8704                           // 0000000090E4: D86C2200 60000015
	ds_read_b32 v97, v21 offset:8768                           // 0000000090EC: D86C2240 61000015
	ds_read_b32 v100, v21 offset:10880                         // 0000000090F4: D86C2A80 64000015
	ds_read_b32 v101, v21 offset:10944                         // 0000000090FC: D86C2AC0 65000015
	ds_read_b32 v104, v21 offset:13056                         // 000000009104: D86C3300 68000015
	ds_read_b32 v105, v21 offset:13120                         // 00000000910C: D86C3340 69000015
	ds_read_b32 v108, v21 offset:15232                         // 000000009114: D86C3B80 6C000015
	ds_read_b32 v109, v21 offset:15296                         // 00000000911C: D86C3BC0 6D000015
	s_mul_i32 s60, s65, 4                                      // 000000009124: 923C8441
	s_add_u32 s8, s60, s8                                      // 000000009128: 8008083C
	s_addc_u32 s9, 0, s9                                       // 00000000912C: 82090980
	s_waitcnt lgkmcnt(0)                                       // 000000009130: BF8CC07F
	v_mov_b32_e32 v7, 0                                        // 000000009134: 7E0E0280
	s_mov_b64 exec, s[36:37]                                   // 000000009138: BEFE0124
	v_mov_b32_e32 v6, v35                                      // 00000000913C: 7E0C0323
	s_mov_b64 s[60:61], 0                                      // 000000009140: BEBC0180
	v_readlane_b32 s82, v3, 0                                  // 000000009144: D2890052 00010103
	s_and_b32 s82, s82, 0xffffff                               // 00000000914C: 8652FF52 00FFFFFF
	s_cmp_lt_u32 s82, s66                                      // 000000009154: BF0A4252
	s_cselect_b32 s20, s36, s60                                // 000000009158: 85143C24
	v_readlane_b32 s82, v3, 1                                  // 00000000915C: D2890052 00010303
	s_and_b32 s82, s82, 0xffffff                               // 000000009164: 8652FF52 00FFFFFF
	s_cmp_lt_u32 s82, s66                                      // 00000000916C: BF0A4252
	s_cselect_b32 s21, s36, s60                                // 000000009170: 85153C24
	s_mov_b64 exec, s[20:21]                                   // 000000009174: BEFE0114
	global_atomic_add_f32 v6, v80, s[8:9]                      // 000000009178: DD348000 00085006
	global_atomic_add_f32 v6, v84, s[8:9] offset:256           // 000000009180: DD348100 00085406
	global_atomic_add_f32 v6, v88, s[8:9] offset:512           // 000000009188: DD348200 00085806
	global_atomic_add_f32 v6, v92, s[8:9] offset:768           // 000000009190: DD348300 00085C06
	global_atomic_add_f32 v6, v96, s[8:9] offset:1024          // 000000009198: DD348400 00086006
	global_atomic_add_f32 v6, v100, s[8:9] offset:1280         // 0000000091A0: DD348500 00086406
	global_atomic_add_f32 v6, v104, s[8:9] offset:1536         // 0000000091A8: DD348600 00086806
	global_atomic_add_f32 v6, v108, s[8:9] offset:1792         // 0000000091B0: DD348700 00086C06
	s_mov_b64 exec, s[36:37]                                   // 0000000091B8: BEFE0124
	v_mov_b32_e32 v6, v36                                      // 0000000091BC: 7E0C0324
	s_mov_b64 s[60:61], 0                                      // 0000000091C0: BEBC0180
	v_readlane_b32 s82, v3, 2                                  // 0000000091C4: D2890052 00010503
	s_and_b32 s82, s82, 0xffffff                               // 0000000091CC: 8652FF52 00FFFFFF
	s_cmp_lt_u32 s82, s66                                      // 0000000091D4: BF0A4252
	s_cselect_b32 s20, s36, s60                                // 0000000091D8: 85143C24
	v_readlane_b32 s82, v3, 3                                  // 0000000091DC: D2890052 00010703
	s_and_b32 s82, s82, 0xffffff                               // 0000000091E4: 8652FF52 00FFFFFF
	s_cmp_lt_u32 s82, s66                                      // 0000000091EC: BF0A4252
	s_cselect_b32 s21, s36, s60                                // 0000000091F0: 85153C24
	s_mov_b64 exec, s[20:21]                                   // 0000000091F4: BEFE0114
	global_atomic_add_f32 v6, v81, s[8:9]                      // 0000000091F8: DD348000 00085106
	global_atomic_add_f32 v6, v85, s[8:9] offset:256           // 000000009200: DD348100 00085506
	global_atomic_add_f32 v6, v89, s[8:9] offset:512           // 000000009208: DD348200 00085906
	global_atomic_add_f32 v6, v93, s[8:9] offset:768           // 000000009210: DD348300 00085D06
	global_atomic_add_f32 v6, v97, s[8:9] offset:1024          // 000000009218: DD348400 00086106
	global_atomic_add_f32 v6, v101, s[8:9] offset:1280         // 000000009220: DD348500 00086506
	global_atomic_add_f32 v6, v105, s[8:9] offset:1536         // 000000009228: DD348600 00086906
	global_atomic_add_f32 v6, v109, s[8:9] offset:1792         // 000000009230: DD348700 00086D06
	s_mov_b64 exec, s[36:37]                                   // 000000009238: BEFE0124
	ds_write_b64 v20, v[82:83]                                 // 00000000923C: D89A0000 00005214
	ds_write_b64 v20, v[86:87] offset:2176                     // 000000009244: D89A0880 00005614
	ds_write_b64 v20, v[90:91] offset:4352                     // 00000000924C: D89A1100 00005A14
	ds_write_b64 v20, v[94:95] offset:6528                     // 000000009254: D89A1980 00005E14
	ds_write_b64 v20, v[98:99] offset:8704                     // 00000000925C: D89A2200 00006214
	ds_write_b64 v20, v[102:103] offset:10880                  // 000000009264: D89A2A80 00006614
	ds_write_b64 v20, v[106:107] offset:13056                  // 00000000926C: D89A3300 00006A14
	ds_write_b64 v20, v[110:111] offset:15232                  // 000000009274: D89A3B80 00006E14
	s_waitcnt lgkmcnt(0)                                       // 00000000927C: BF8CC07F
	s_barrier                                                  // 000000009280: BF8A0000
	ds_read_b32 v82, v21                                       // 000000009284: D86C0000 52000015
	ds_read_b32 v83, v21 offset:64                             // 00000000928C: D86C0040 53000015
	ds_read_b32 v86, v21 offset:2176                           // 000000009294: D86C0880 56000015
	ds_read_b32 v87, v21 offset:2240                           // 00000000929C: D86C08C0 57000015
	ds_read_b32 v90, v21 offset:4352                           // 0000000092A4: D86C1100 5A000015
	ds_read_b32 v91, v21 offset:4416                           // 0000000092AC: D86C1140 5B000015
	ds_read_b32 v94, v21 offset:6528                           // 0000000092B4: D86C1980 5E000015
	ds_read_b32 v95, v21 offset:6592                           // 0000000092BC: D86C19C0 5F000015
	ds_read_b32 v98, v21 offset:8704                           // 0000000092C4: D86C2200 62000015
	ds_read_b32 v99, v21 offset:8768                           // 0000000092CC: D86C2240 63000015
	ds_read_b32 v102, v21 offset:10880                         // 0000000092D4: D86C2A80 66000015
	ds_read_b32 v103, v21 offset:10944                         // 0000000092DC: D86C2AC0 67000015
	ds_read_b32 v106, v21 offset:13056                         // 0000000092E4: D86C3300 6A000015
	ds_read_b32 v107, v21 offset:13120                         // 0000000092EC: D86C3340 6B000015
	ds_read_b32 v110, v21 offset:15232                         // 0000000092F4: D86C3B80 6E000015
	ds_read_b32 v111, v21 offset:15296                         // 0000000092FC: D86C3BC0 6F000015
	s_waitcnt lgkmcnt(0)                                       // 000000009304: BF8CC07F
	v_mov_b32_e32 v7, 0                                        // 000000009308: 7E0E0280
	s_mov_b64 exec, s[36:37]                                   // 00000000930C: BEFE0124
	v_mov_b32_e32 v6, v35                                      // 000000009310: 7E0C0323
	s_mov_b64 s[60:61], 0                                      // 000000009314: BEBC0180
	v_readlane_b32 s82, v3, 0                                  // 000000009318: D2890052 00010103
	s_and_b32 s82, s82, 0xffffff                               // 000000009320: 8652FF52 00FFFFFF
	s_cmp_lt_u32 s82, s66                                      // 000000009328: BF0A4252
	s_cselect_b32 s20, s36, s60                                // 00000000932C: 85143C24
	v_readlane_b32 s82, v3, 1                                  // 000000009330: D2890052 00010303
	s_and_b32 s82, s82, 0xffffff                               // 000000009338: 8652FF52 00FFFFFF
	s_cmp_lt_u32 s82, s66                                      // 000000009340: BF0A4252
	s_cselect_b32 s21, s36, s60                                // 000000009344: 85153C24
	s_mov_b64 exec, s[20:21]                                   // 000000009348: BEFE0114
	global_atomic_add_f32 v6, v82, s[8:9] offset:8             // 00000000934C: DD348008 00085206
	global_atomic_add_f32 v6, v86, s[8:9] offset:264           // 000000009354: DD348108 00085606
	global_atomic_add_f32 v6, v90, s[8:9] offset:520           // 00000000935C: DD348208 00085A06
	global_atomic_add_f32 v6, v94, s[8:9] offset:776           // 000000009364: DD348308 00085E06
	global_atomic_add_f32 v6, v98, s[8:9] offset:1032          // 00000000936C: DD348408 00086206
	global_atomic_add_f32 v6, v102, s[8:9] offset:1288         // 000000009374: DD348508 00086606
	global_atomic_add_f32 v6, v106, s[8:9] offset:1544         // 00000000937C: DD348608 00086A06
	global_atomic_add_f32 v6, v110, s[8:9] offset:1800         // 000000009384: DD348708 00086E06
	s_mov_b64 exec, s[36:37]                                   // 00000000938C: BEFE0124
	v_mov_b32_e32 v6, v36                                      // 000000009390: 7E0C0324
	s_mov_b64 s[60:61], 0                                      // 000000009394: BEBC0180
	v_readlane_b32 s82, v3, 2                                  // 000000009398: D2890052 00010503
	s_and_b32 s82, s82, 0xffffff                               // 0000000093A0: 8652FF52 00FFFFFF
	s_cmp_lt_u32 s82, s66                                      // 0000000093A8: BF0A4252
	s_cselect_b32 s20, s36, s60                                // 0000000093AC: 85143C24
	v_readlane_b32 s82, v3, 3                                  // 0000000093B0: D2890052 00010703
	s_and_b32 s82, s82, 0xffffff                               // 0000000093B8: 8652FF52 00FFFFFF
	s_cmp_lt_u32 s82, s66                                      // 0000000093C0: BF0A4252
	s_cselect_b32 s21, s36, s60                                // 0000000093C4: 85153C24
	s_mov_b64 exec, s[20:21]                                   // 0000000093C8: BEFE0114
	global_atomic_add_f32 v6, v83, s[8:9] offset:8             // 0000000093CC: DD348008 00085306
	global_atomic_add_f32 v6, v87, s[8:9] offset:264           // 0000000093D4: DD348108 00085706
	global_atomic_add_f32 v6, v91, s[8:9] offset:520           // 0000000093DC: DD348208 00085B06
	global_atomic_add_f32 v6, v95, s[8:9] offset:776           // 0000000093E4: DD348308 00085F06
	global_atomic_add_f32 v6, v99, s[8:9] offset:1032          // 0000000093EC: DD348408 00086306
	global_atomic_add_f32 v6, v103, s[8:9] offset:1288         // 0000000093F4: DD348508 00086706
	global_atomic_add_f32 v6, v107, s[8:9] offset:1544         // 0000000093FC: DD348608 00086B06
	global_atomic_add_f32 v6, v111, s[8:9] offset:1800         // 000000009404: DD348708 00086F06
	s_mov_b64 exec, s[36:37]                                   // 00000000940C: BEFE0124
	s_branch label_1A88                                        // 000000009410: BF820000

0000000000009414 <label_1A88>:
	s_waitcnt vmcnt(0) expcnt(0) lgkmcnt(0)                    // 000000009414: BF8C0000
	s_endpgm                                                   // 000000009418: BF810000
